;; amdgpu-corpus repo=ROCm/rocFFT kind=compiled arch=gfx1030 opt=O3
	.text
	.amdgcn_target "amdgcn-amd-amdhsa--gfx1030"
	.amdhsa_code_object_version 6
	.protected	fft_rtc_fwd_len546_factors_13_3_7_2_wgs_117_tpt_39_halfLds_dp_ip_CI_sbrr_dirReg ; -- Begin function fft_rtc_fwd_len546_factors_13_3_7_2_wgs_117_tpt_39_halfLds_dp_ip_CI_sbrr_dirReg
	.globl	fft_rtc_fwd_len546_factors_13_3_7_2_wgs_117_tpt_39_halfLds_dp_ip_CI_sbrr_dirReg
	.p2align	8
	.type	fft_rtc_fwd_len546_factors_13_3_7_2_wgs_117_tpt_39_halfLds_dp_ip_CI_sbrr_dirReg,@function
fft_rtc_fwd_len546_factors_13_3_7_2_wgs_117_tpt_39_halfLds_dp_ip_CI_sbrr_dirReg: ; @fft_rtc_fwd_len546_factors_13_3_7_2_wgs_117_tpt_39_halfLds_dp_ip_CI_sbrr_dirReg
; %bb.0:
	s_clause 0x1
	s_load_dwordx2 s[14:15], s[4:5], 0x18
	s_load_dwordx4 s[8:11], s[4:5], 0x0
	v_mul_u32_u24_e32 v1, 0x691, v0
	s_load_dwordx2 s[12:13], s[4:5], 0x50
	s_waitcnt lgkmcnt(0)
	s_load_dwordx2 s[2:3], s[14:15], 0x0
	v_lshrrev_b32_e32 v2, 16, v1
	v_mov_b32_e32 v1, 0
	v_cmp_lt_u64_e64 s0, s[10:11], 2
	v_mad_u64_u32 v[104:105], null, s6, 3, v[2:3]
	v_mov_b32_e32 v105, v1
	v_mov_b32_e32 v3, 0
	;; [unrolled: 1-line block ×3, first 2 shown]
	s_and_b32 vcc_lo, exec_lo, s0
	v_mov_b32_e32 v7, v104
	v_mov_b32_e32 v8, v105
	s_cbranch_vccnz .LBB0_8
; %bb.1:
	s_load_dwordx2 s[0:1], s[4:5], 0x10
	v_mov_b32_e32 v3, 0
	v_mov_b32_e32 v5, v104
	s_add_u32 s6, s14, 8
	v_mov_b32_e32 v4, 0
	v_mov_b32_e32 v6, v105
	s_addc_u32 s7, s15, 0
	s_mov_b64 s[18:19], 1
	s_waitcnt lgkmcnt(0)
	s_add_u32 s16, s0, 8
	s_addc_u32 s17, s1, 0
.LBB0_2:                                ; =>This Inner Loop Header: Depth=1
	s_load_dwordx2 s[20:21], s[16:17], 0x0
                                        ; implicit-def: $vgpr7_vgpr8
	s_mov_b32 s0, exec_lo
	s_waitcnt lgkmcnt(0)
	v_or_b32_e32 v2, s21, v6
	v_cmpx_ne_u64_e32 0, v[1:2]
	s_xor_b32 s1, exec_lo, s0
	s_cbranch_execz .LBB0_4
; %bb.3:                                ;   in Loop: Header=BB0_2 Depth=1
	v_cvt_f32_u32_e32 v2, s20
	v_cvt_f32_u32_e32 v7, s21
	s_sub_u32 s0, 0, s20
	s_subb_u32 s22, 0, s21
	v_fmac_f32_e32 v2, 0x4f800000, v7
	v_rcp_f32_e32 v2, v2
	v_mul_f32_e32 v2, 0x5f7ffffc, v2
	v_mul_f32_e32 v7, 0x2f800000, v2
	v_trunc_f32_e32 v7, v7
	v_fmac_f32_e32 v2, 0xcf800000, v7
	v_cvt_u32_f32_e32 v7, v7
	v_cvt_u32_f32_e32 v2, v2
	v_mul_lo_u32 v8, s0, v7
	v_mul_hi_u32 v9, s0, v2
	v_mul_lo_u32 v10, s22, v2
	v_add_nc_u32_e32 v8, v9, v8
	v_mul_lo_u32 v9, s0, v2
	v_add_nc_u32_e32 v8, v8, v10
	v_mul_hi_u32 v10, v2, v9
	v_mul_lo_u32 v11, v2, v8
	v_mul_hi_u32 v12, v2, v8
	v_mul_hi_u32 v13, v7, v9
	v_mul_lo_u32 v9, v7, v9
	v_mul_hi_u32 v14, v7, v8
	v_mul_lo_u32 v8, v7, v8
	v_add_co_u32 v10, vcc_lo, v10, v11
	v_add_co_ci_u32_e32 v11, vcc_lo, 0, v12, vcc_lo
	v_add_co_u32 v9, vcc_lo, v10, v9
	v_add_co_ci_u32_e32 v9, vcc_lo, v11, v13, vcc_lo
	v_add_co_ci_u32_e32 v10, vcc_lo, 0, v14, vcc_lo
	v_add_co_u32 v8, vcc_lo, v9, v8
	v_add_co_ci_u32_e32 v9, vcc_lo, 0, v10, vcc_lo
	v_add_co_u32 v2, vcc_lo, v2, v8
	v_add_co_ci_u32_e32 v7, vcc_lo, v7, v9, vcc_lo
	v_mul_hi_u32 v8, s0, v2
	v_mul_lo_u32 v10, s22, v2
	v_mul_lo_u32 v9, s0, v7
	v_add_nc_u32_e32 v8, v8, v9
	v_mul_lo_u32 v9, s0, v2
	v_add_nc_u32_e32 v8, v8, v10
	v_mul_hi_u32 v10, v2, v9
	v_mul_lo_u32 v11, v2, v8
	v_mul_hi_u32 v12, v2, v8
	v_mul_hi_u32 v13, v7, v9
	v_mul_lo_u32 v9, v7, v9
	v_mul_hi_u32 v14, v7, v8
	v_mul_lo_u32 v8, v7, v8
	v_add_co_u32 v10, vcc_lo, v10, v11
	v_add_co_ci_u32_e32 v11, vcc_lo, 0, v12, vcc_lo
	v_add_co_u32 v9, vcc_lo, v10, v9
	v_add_co_ci_u32_e32 v9, vcc_lo, v11, v13, vcc_lo
	v_add_co_ci_u32_e32 v10, vcc_lo, 0, v14, vcc_lo
	v_add_co_u32 v8, vcc_lo, v9, v8
	v_add_co_ci_u32_e32 v9, vcc_lo, 0, v10, vcc_lo
	v_add_co_u32 v2, vcc_lo, v2, v8
	v_add_co_ci_u32_e32 v11, vcc_lo, v7, v9, vcc_lo
	v_mul_hi_u32 v13, v5, v2
	v_mad_u64_u32 v[9:10], null, v6, v2, 0
	v_mad_u64_u32 v[7:8], null, v5, v11, 0
	v_mad_u64_u32 v[11:12], null, v6, v11, 0
	v_add_co_u32 v2, vcc_lo, v13, v7
	v_add_co_ci_u32_e32 v7, vcc_lo, 0, v8, vcc_lo
	v_add_co_u32 v2, vcc_lo, v2, v9
	v_add_co_ci_u32_e32 v2, vcc_lo, v7, v10, vcc_lo
	v_add_co_ci_u32_e32 v7, vcc_lo, 0, v12, vcc_lo
	v_add_co_u32 v2, vcc_lo, v2, v11
	v_add_co_ci_u32_e32 v9, vcc_lo, 0, v7, vcc_lo
	v_mul_lo_u32 v10, s21, v2
	v_mad_u64_u32 v[7:8], null, s20, v2, 0
	v_mul_lo_u32 v11, s20, v9
	v_sub_co_u32 v7, vcc_lo, v5, v7
	v_add3_u32 v8, v8, v11, v10
	v_sub_nc_u32_e32 v10, v6, v8
	v_subrev_co_ci_u32_e64 v10, s0, s21, v10, vcc_lo
	v_add_co_u32 v11, s0, v2, 2
	v_add_co_ci_u32_e64 v12, s0, 0, v9, s0
	v_sub_co_u32 v13, s0, v7, s20
	v_sub_co_ci_u32_e32 v8, vcc_lo, v6, v8, vcc_lo
	v_subrev_co_ci_u32_e64 v10, s0, 0, v10, s0
	v_cmp_le_u32_e32 vcc_lo, s20, v13
	v_cmp_eq_u32_e64 s0, s21, v8
	v_cndmask_b32_e64 v13, 0, -1, vcc_lo
	v_cmp_le_u32_e32 vcc_lo, s21, v10
	v_cndmask_b32_e64 v14, 0, -1, vcc_lo
	v_cmp_le_u32_e32 vcc_lo, s20, v7
	;; [unrolled: 2-line block ×3, first 2 shown]
	v_cndmask_b32_e64 v15, 0, -1, vcc_lo
	v_cmp_eq_u32_e32 vcc_lo, s21, v10
	v_cndmask_b32_e64 v7, v15, v7, s0
	v_cndmask_b32_e32 v10, v14, v13, vcc_lo
	v_add_co_u32 v13, vcc_lo, v2, 1
	v_add_co_ci_u32_e32 v14, vcc_lo, 0, v9, vcc_lo
	v_cmp_ne_u32_e32 vcc_lo, 0, v10
	v_cndmask_b32_e32 v8, v14, v12, vcc_lo
	v_cndmask_b32_e32 v10, v13, v11, vcc_lo
	v_cmp_ne_u32_e32 vcc_lo, 0, v7
	v_cndmask_b32_e32 v8, v9, v8, vcc_lo
	v_cndmask_b32_e32 v7, v2, v10, vcc_lo
.LBB0_4:                                ;   in Loop: Header=BB0_2 Depth=1
	s_andn2_saveexec_b32 s0, s1
	s_cbranch_execz .LBB0_6
; %bb.5:                                ;   in Loop: Header=BB0_2 Depth=1
	v_cvt_f32_u32_e32 v2, s20
	s_sub_i32 s1, 0, s20
	v_rcp_iflag_f32_e32 v2, v2
	v_mul_f32_e32 v2, 0x4f7ffffe, v2
	v_cvt_u32_f32_e32 v2, v2
	v_mul_lo_u32 v7, s1, v2
	v_mul_hi_u32 v7, v2, v7
	v_add_nc_u32_e32 v2, v2, v7
	v_mul_hi_u32 v2, v5, v2
	v_mul_lo_u32 v7, v2, s20
	v_add_nc_u32_e32 v8, 1, v2
	v_sub_nc_u32_e32 v7, v5, v7
	v_subrev_nc_u32_e32 v9, s20, v7
	v_cmp_le_u32_e32 vcc_lo, s20, v7
	v_cndmask_b32_e32 v7, v7, v9, vcc_lo
	v_cndmask_b32_e32 v2, v2, v8, vcc_lo
	v_cmp_le_u32_e32 vcc_lo, s20, v7
	v_add_nc_u32_e32 v8, 1, v2
	v_cndmask_b32_e32 v7, v2, v8, vcc_lo
	v_mov_b32_e32 v8, v1
.LBB0_6:                                ;   in Loop: Header=BB0_2 Depth=1
	s_or_b32 exec_lo, exec_lo, s0
	s_load_dwordx2 s[0:1], s[6:7], 0x0
	v_mul_lo_u32 v2, v8, s20
	v_mul_lo_u32 v11, v7, s21
	v_mad_u64_u32 v[9:10], null, v7, s20, 0
	s_add_u32 s18, s18, 1
	s_addc_u32 s19, s19, 0
	s_add_u32 s6, s6, 8
	s_addc_u32 s7, s7, 0
	s_add_u32 s16, s16, 8
	s_addc_u32 s17, s17, 0
	v_add3_u32 v2, v10, v11, v2
	v_sub_co_u32 v5, vcc_lo, v5, v9
	v_sub_co_ci_u32_e32 v2, vcc_lo, v6, v2, vcc_lo
	s_waitcnt lgkmcnt(0)
	v_mul_lo_u32 v6, s1, v5
	v_mul_lo_u32 v2, s0, v2
	v_mad_u64_u32 v[3:4], null, s0, v5, v[3:4]
	v_cmp_ge_u64_e64 s0, s[18:19], s[10:11]
	s_and_b32 vcc_lo, exec_lo, s0
	v_add3_u32 v4, v6, v4, v2
	s_cbranch_vccnz .LBB0_8
; %bb.7:                                ;   in Loop: Header=BB0_2 Depth=1
	v_mov_b32_e32 v5, v7
	v_mov_b32_e32 v6, v8
	s_branch .LBB0_2
.LBB0_8:
	s_lshl_b64 s[0:1], s[10:11], 3
                                        ; implicit-def: $vgpr54_vgpr55
                                        ; implicit-def: $vgpr70_vgpr71
                                        ; implicit-def: $vgpr86_vgpr87
                                        ; implicit-def: $vgpr98_vgpr99
                                        ; implicit-def: $vgpr102_vgpr103
                                        ; implicit-def: $vgpr62_vgpr63
                                        ; implicit-def: $vgpr58_vgpr59
                                        ; implicit-def: $vgpr74_vgpr75
                                        ; implicit-def: $vgpr90_vgpr91
                                        ; implicit-def: $vgpr82_vgpr83
                                        ; implicit-def: $vgpr94_vgpr95
                                        ; implicit-def: $vgpr78_vgpr79
                                        ; implicit-def: $vgpr10_vgpr11
                                        ; implicit-def: $vgpr22_vgpr23
                                        ; implicit-def: $vgpr26_vgpr27
                                        ; implicit-def: $vgpr34_vgpr35
                                        ; implicit-def: $vgpr42_vgpr43
                                        ; implicit-def: $vgpr14_vgpr15
                                        ; implicit-def: $vgpr18_vgpr19
                                        ; implicit-def: $vgpr30_vgpr31
                                        ; implicit-def: $vgpr38_vgpr39
                                        ; implicit-def: $vgpr46_vgpr47
                                        ; implicit-def: $vgpr50_vgpr51
                                        ; implicit-def: $vgpr66_vgpr67
	s_add_u32 s0, s14, s0
	s_addc_u32 s1, s15, s1
	s_load_dwordx2 s[0:1], s[0:1], 0x0
	s_load_dwordx2 s[4:5], s[4:5], 0x20
	s_waitcnt lgkmcnt(0)
	v_mul_lo_u32 v5, s0, v8
	v_mul_lo_u32 v6, s1, v7
	v_mad_u64_u32 v[1:2], null, s0, v7, v[3:4]
	v_mul_hi_u32 v3, 0x6906907, v0
	v_cmp_gt_u64_e32 vcc_lo, s[4:5], v[7:8]
	v_add3_u32 v2, v6, v2, v5
                                        ; implicit-def: $vgpr6_vgpr7
	v_mul_u32_u24_e32 v3, 39, v3
	v_lshlrev_b64 v[130:131], 4, v[1:2]
	v_sub_nc_u32_e32 v128, v0, v3
                                        ; implicit-def: $vgpr2_vgpr3
	s_and_saveexec_b32 s1, vcc_lo
	s_cbranch_execz .LBB0_12
; %bb.9:
	v_add_nc_u32_e32 v9, 42, v128
	v_mad_u64_u32 v[0:1], null, s2, v128, 0
	v_add_nc_u32_e32 v11, 0x54, v128
	v_add_nc_u32_e32 v12, 0x7e, v128
	v_mad_u64_u32 v[2:3], null, s2, v9, 0
	v_add_co_u32 v54, s0, s12, v130
	v_mad_u64_u32 v[7:8], null, s2, v12, 0
	v_add_nc_u32_e32 v14, 0xa8, v128
	v_add_co_ci_u32_e64 v55, s0, s13, v131, s0
	v_mad_u64_u32 v[4:5], null, s3, v128, v[1:2]
	v_mov_b32_e32 v1, v3
	v_mad_u64_u32 v[5:6], null, s2, v11, 0
	v_add_nc_u32_e32 v16, 0xd2, v128
	v_add_nc_u32_e32 v18, 0xfc, v128
	v_mad_u64_u32 v[9:10], null, s3, v9, v[1:2]
	v_mov_b32_e32 v1, v4
	v_add_nc_u32_e32 v19, 0x126, v128
	v_mov_b32_e32 v4, v6
	v_mov_b32_e32 v6, v8
	v_add_nc_u32_e32 v32, 0x1ce, v128
	v_lshlrev_b64 v[0:1], 4, v[0:1]
	v_mov_b32_e32 v3, v9
	v_mad_u64_u32 v[8:9], null, s3, v11, v[4:5]
	v_mad_u64_u32 v[11:12], null, s3, v12, v[6:7]
	v_lshlrev_b64 v[2:3], 4, v[2:3]
	v_add_co_u32 v0, s0, v54, v0
	v_mad_u64_u32 v[12:13], null, s2, v14, 0
	v_add_co_ci_u32_e64 v1, s0, v55, v1, s0
	v_add_co_u32 v9, s0, v54, v2
	v_mov_b32_e32 v6, v8
	v_mov_b32_e32 v8, v11
	v_add_co_ci_u32_e64 v10, s0, v55, v3, s0
	s_clause 0x1
	global_load_dwordx4 v[0:3], v[0:1], off
	global_load_dwordx4 v[64:67], v[9:10], off
	v_lshlrev_b64 v[4:5], 4, v[5:6]
	v_lshlrev_b64 v[7:8], 4, v[7:8]
	v_mov_b32_e32 v6, v13
	v_mad_u64_u32 v[9:10], null, s2, v16, 0
	v_mad_u64_u32 v[24:25], null, s2, v32, 0
	v_add_co_u32 v4, s0, v54, v4
	v_mad_u64_u32 v[13:14], null, s3, v14, v[6:7]
	v_mad_u64_u32 v[14:15], null, s2, v18, 0
	v_add_co_ci_u32_e64 v5, s0, v55, v5, s0
	v_mov_b32_e32 v6, v10
	v_add_co_u32 v7, s0, v54, v7
	v_add_co_ci_u32_e64 v8, s0, v55, v8, s0
	s_clause 0x1
	global_load_dwordx4 v[48:51], v[4:5], off
	global_load_dwordx4 v[44:47], v[7:8], off
	v_mad_u64_u32 v[10:11], null, s3, v16, v[6:7]
	v_mad_u64_u32 v[16:17], null, s2, v19, 0
	v_mov_b32_e32 v6, v15
	v_lshlrev_b64 v[4:5], 4, v[12:13]
	v_add_nc_u32_e32 v11, 0x150, v128
	v_add_nc_u32_e32 v12, 0x17a, v128
	v_lshlrev_b64 v[8:9], 4, v[9:10]
	v_mad_u64_u32 v[6:7], null, s3, v18, v[6:7]
	v_mov_b32_e32 v7, v17
	v_add_co_u32 v4, s0, v54, v4
	v_add_co_ci_u32_e64 v5, s0, v55, v5, s0
	v_mad_u64_u32 v[20:21], null, s2, v11, 0
	v_mov_b32_e32 v15, v6
	v_mad_u64_u32 v[6:7], null, s3, v19, v[7:8]
	v_add_co_u32 v7, s0, v54, v8
	v_add_co_ci_u32_e64 v8, s0, v55, v9, s0
	v_lshlrev_b64 v[9:10], 4, v[14:15]
	s_clause 0x1
	global_load_dwordx4 v[36:39], v[4:5], off
	global_load_dwordx4 v[28:31], v[7:8], off
	v_mov_b32_e32 v17, v6
	v_mov_b32_e32 v6, v21
	v_add_nc_u32_e32 v13, 0x1a4, v128
	v_add_co_u32 v4, s0, v54, v9
	v_lshlrev_b64 v[7:8], 4, v[16:17]
	v_add_co_ci_u32_e64 v5, s0, v55, v10, s0
	v_mad_u64_u32 v[22:23], null, s2, v13, 0
	v_add_nc_u32_e32 v33, 0x1f8, v128
	v_mad_u64_u32 v[9:10], null, s3, v11, v[6:7]
	v_mad_u64_u32 v[10:11], null, s2, v12, 0
	v_add_co_u32 v6, s0, v54, v7
	v_add_co_ci_u32_e64 v7, s0, v55, v8, s0
	v_mov_b32_e32 v21, v9
	v_mov_b32_e32 v9, v23
	;; [unrolled: 1-line block ×3, first 2 shown]
	v_mad_u64_u32 v[26:27], null, s2, v33, 0
	s_mov_b32 s4, exec_lo
                                        ; implicit-def: $vgpr76_vgpr77
                                        ; implicit-def: $vgpr92_vgpr93
                                        ; implicit-def: $vgpr80_vgpr81
                                        ; implicit-def: $vgpr88_vgpr89
                                        ; implicit-def: $vgpr72_vgpr73
                                        ; implicit-def: $vgpr56_vgpr57
                                        ; implicit-def: $vgpr60_vgpr61
                                        ; implicit-def: $vgpr100_vgpr101
                                        ; implicit-def: $vgpr96_vgpr97
                                        ; implicit-def: $vgpr84_vgpr85
                                        ; implicit-def: $vgpr68_vgpr69
	v_mad_u64_u32 v[11:12], null, s3, v12, v[8:9]
	v_mad_u64_u32 v[8:9], null, s3, v13, v[9:10]
	s_clause 0x1
	global_load_dwordx4 v[16:19], v[4:5], off
	global_load_dwordx4 v[12:15], v[6:7], off
	v_lshlrev_b64 v[5:6], 4, v[20:21]
	v_mov_b32_e32 v4, v25
	v_mov_b32_e32 v23, v8
	v_mad_u64_u32 v[7:8], null, s3, v32, v[4:5]
	v_mov_b32_e32 v4, v27
	v_add_co_u32 v5, s0, v54, v5
	v_lshlrev_b64 v[8:9], 4, v[10:11]
	v_lshlrev_b64 v[20:21], 4, v[22:23]
	v_add_co_ci_u32_e64 v6, s0, v55, v6, s0
	v_mad_u64_u32 v[10:11], null, s3, v33, v[4:5]
	v_mov_b32_e32 v25, v7
	v_add_co_u32 v7, s0, v54, v8
	v_add_co_ci_u32_e64 v8, s0, v55, v9, s0
	v_lshlrev_b64 v[22:23], 4, v[24:25]
	v_mov_b32_e32 v27, v10
	v_add_co_u32 v9, s0, v54, v20
	v_add_co_ci_u32_e64 v10, s0, v55, v21, s0
	v_lshlrev_b64 v[20:21], 4, v[26:27]
	v_add_co_u32 v22, s0, v54, v22
	v_add_co_ci_u32_e64 v23, s0, v55, v23, s0
	v_add_co_u32 v52, s0, v54, v20
	v_add_co_ci_u32_e64 v53, s0, v55, v21, s0
	s_clause 0x4
	global_load_dwordx4 v[40:43], v[5:6], off
	global_load_dwordx4 v[32:35], v[7:8], off
	;; [unrolled: 1-line block ×5, first 2 shown]
                                        ; implicit-def: $vgpr4_vgpr5
                                        ; implicit-def: $vgpr52_vgpr53
	v_cmpx_gt_u32_e32 3, v128
	s_cbranch_execz .LBB0_11
; %bb.10:
	v_add_nc_u32_e32 v52, 39, v128
	v_add_nc_u32_e32 v60, 0x51, v128
	v_add_nc_u32_e32 v62, 0x7b, v128
	v_add_nc_u32_e32 v63, 0xa5, v128
	v_add_nc_u32_e32 v68, 0xcf, v128
	v_mad_u64_u32 v[4:5], null, s2, v52, 0
	v_mad_u64_u32 v[6:7], null, s2, v60, 0
	;; [unrolled: 1-line block ×4, first 2 shown]
	v_add_nc_u32_e32 v70, 0xf9, v128
	v_add_nc_u32_e32 v71, 0x123, v128
	v_mad_u64_u32 v[52:53], null, s3, v52, v[5:6]
	s_waitcnt vmcnt(0)
	v_mad_u64_u32 v[60:61], null, s3, v60, v[7:8]
	v_add_nc_u32_e32 v72, 0x14d, v128
	v_add_nc_u32_e32 v100, 0x1f5, v128
	;; [unrolled: 1-line block ×3, first 2 shown]
	v_mov_b32_e32 v5, v52
	v_mad_u64_u32 v[52:53], null, s2, v68, 0
	v_mov_b32_e32 v7, v60
	v_mad_u64_u32 v[60:61], null, s3, v62, v[57:58]
	v_lshlrev_b64 v[4:5], 4, v[4:5]
	v_mad_u64_u32 v[86:87], null, s2, v100, 0
	v_lshlrev_b64 v[6:7], 4, v[6:7]
	v_mad_u64_u32 v[61:62], null, s3, v63, v[59:60]
	v_add_co_u32 v4, s0, v54, v4
	v_add_co_ci_u32_e64 v5, s0, v55, v5, s0
	v_add_co_u32 v62, s0, v54, v6
	v_mov_b32_e32 v57, v60
	v_add_co_ci_u32_e64 v63, s0, v55, v7, s0
	v_mov_b32_e32 v59, v61
	s_clause 0x1
	global_load_dwordx4 v[4:7], v[4:5], off
	global_load_dwordx4 v[76:79], v[62:63], off
	v_lshlrev_b64 v[56:57], 4, v[56:57]
	v_mad_u64_u32 v[60:61], null, s2, v70, 0
	v_mad_u64_u32 v[62:63], null, s3, v68, v[53:54]
	v_lshlrev_b64 v[58:59], 4, v[58:59]
	v_add_co_u32 v56, s0, v54, v56
	v_mad_u64_u32 v[68:69], null, s2, v71, 0
	v_add_co_ci_u32_e64 v57, s0, v55, v57, s0
	v_add_co_u32 v58, s0, v54, v58
	v_mov_b32_e32 v53, v62
	v_mad_u64_u32 v[61:62], null, s3, v70, v[61:62]
	v_mad_u64_u32 v[62:63], null, s2, v72, 0
	v_add_co_ci_u32_e64 v59, s0, v55, v59, s0
	s_clause 0x1
	global_load_dwordx4 v[92:95], v[56:57], off
	global_load_dwordx4 v[80:83], v[58:59], off
	v_mad_u64_u32 v[56:57], null, s3, v71, v[69:70]
	v_lshlrev_b64 v[58:59], 4, v[60:61]
	v_mov_b32_e32 v57, v63
	v_lshlrev_b64 v[52:53], 4, v[52:53]
	v_add_nc_u32_e32 v61, 0x177, v128
	v_mov_b32_e32 v69, v56
	v_mad_u64_u32 v[56:57], null, s3, v72, v[57:58]
	v_add_co_u32 v52, s0, v54, v52
	v_add_co_ci_u32_e64 v53, s0, v55, v53, s0
	v_add_co_u32 v57, s0, v54, v58
	v_mov_b32_e32 v63, v56
	v_add_co_ci_u32_e64 v58, s0, v55, v59, s0
	v_lshlrev_b64 v[59:60], 4, v[68:69]
	v_mad_u64_u32 v[68:69], null, s2, v61, 0
	s_clause 0x1
	global_load_dwordx4 v[88:91], v[52:53], off
	global_load_dwordx4 v[72:75], v[57:58], off
	v_lshlrev_b64 v[57:58], 4, v[62:63]
	v_add_nc_u32_e32 v62, 0x1a1, v128
	v_add_nc_u32_e32 v63, 0x1cb, v128
	v_add_co_u32 v52, s0, v54, v59
	v_mov_b32_e32 v56, v69
	v_mad_u64_u32 v[70:71], null, s2, v62, 0
	v_mad_u64_u32 v[84:85], null, s2, v63, 0
	v_add_co_ci_u32_e64 v53, s0, v55, v60, s0
	v_mad_u64_u32 v[59:60], null, s3, v61, v[56:57]
	v_add_co_u32 v60, s0, v54, v57
	v_mov_b32_e32 v56, v71
	v_mov_b32_e32 v57, v85
	v_add_co_ci_u32_e64 v61, s0, v55, v58, s0
	v_mov_b32_e32 v69, v59
	v_mad_u64_u32 v[96:97], null, s3, v62, v[56:57]
	v_mad_u64_u32 v[97:98], null, s3, v63, v[57:58]
	v_mad_u64_u32 v[98:99], null, s2, v101, 0
	s_clause 0x1
	global_load_dwordx4 v[56:59], v[52:53], off
	global_load_dwordx4 v[60:63], v[60:61], off
	v_mov_b32_e32 v52, v87
	v_mov_b32_e32 v71, v96
	v_lshlrev_b64 v[68:69], 4, v[68:69]
	v_mov_b32_e32 v85, v97
	v_mad_u64_u32 v[52:53], null, s3, v100, v[52:53]
	v_mov_b32_e32 v53, v99
	v_lshlrev_b64 v[70:71], 4, v[70:71]
	v_add_co_u32 v68, s0, v54, v68
	v_add_co_ci_u32_e64 v69, s0, v55, v69, s0
	v_mad_u64_u32 v[96:97], null, s3, v101, v[53:54]
	v_mov_b32_e32 v87, v52
	v_lshlrev_b64 v[84:85], 4, v[84:85]
	v_add_co_u32 v52, s0, v54, v70
	v_add_co_ci_u32_e64 v53, s0, v55, v71, s0
	v_mov_b32_e32 v99, v96
	v_lshlrev_b64 v[70:71], 4, v[86:87]
	v_add_co_u32 v84, s0, v54, v84
	v_add_co_ci_u32_e64 v85, s0, v55, v85, s0
	v_lshlrev_b64 v[86:87], 4, v[98:99]
	v_add_co_u32 v70, s0, v54, v70
	v_add_co_ci_u32_e64 v71, s0, v55, v71, s0
	v_add_co_u32 v54, s0, v54, v86
	v_add_co_ci_u32_e64 v55, s0, v55, v87, s0
	s_clause 0x4
	global_load_dwordx4 v[100:103], v[68:69], off
	global_load_dwordx4 v[96:99], v[52:53], off
	global_load_dwordx4 v[84:87], v[84:85], off
	global_load_dwordx4 v[68:71], v[70:71], off
	global_load_dwordx4 v[52:55], v[54:55], off
.LBB0_11:
	s_or_b32 exec_lo, exec_lo, s4
.LBB0_12:
	s_or_b32 exec_lo, exec_lo, s1
	s_waitcnt vmcnt(0)
	v_add_f64 v[109:110], v[8:9], v[64:65]
	s_mov_b32 s4, 0x1ea71119
	s_mov_b32 s6, 0xb2365da1
	;; [unrolled: 1-line block ×6, first 2 shown]
	v_add_f64 v[105:106], v[66:67], -v[10:11]
	v_add_f64 v[111:112], v[20:21], v[48:49]
	s_mov_b32 s10, 0x42a4c3d2
	s_mov_b32 s18, 0x2ef20147
	;; [unrolled: 1-line block ×10, first 2 shown]
	v_add_f64 v[107:108], v[50:51], -v[22:23]
	v_add_f64 v[136:137], v[24:25], v[44:45]
	v_add_f64 v[117:118], v[64:65], v[0:1]
	v_mul_f64 v[115:116], v[109:110], s[4:5]
	v_mul_f64 v[113:114], v[109:110], s[14:15]
	;; [unrolled: 1-line block ×4, first 2 shown]
	v_add_f64 v[144:145], v[76:77], v[4:5]
	s_mov_b32 s34, 0x4bc48dbf
	s_mov_b32 s30, 0x24c2f84
	;; [unrolled: 1-line block ×3, first 2 shown]
	v_mul_f64 v[146:147], v[111:112], s[6:7]
	v_mul_f64 v[148:149], v[111:112], s[24:25]
	;; [unrolled: 1-line block ×3, first 2 shown]
	s_mov_b32 s31, 0x3fe5384d
	s_mov_b32 s27, 0xbfe5384d
	;; [unrolled: 1-line block ×3, first 2 shown]
	v_add_f64 v[140:141], v[46:47], -v[26:27]
	v_add_f64 v[138:139], v[32:33], v[36:37]
	v_mul_f64 v[152:153], v[111:112], s[14:15]
	s_mov_b32 s22, 0xe00740e9
	s_mov_b32 s29, 0xbfedeba7
	;; [unrolled: 1-line block ×3, first 2 shown]
	v_mul_f64 v[158:159], v[136:137], s[24:25]
	v_mul_f64 v[160:161], v[136:137], s[6:7]
	v_fma_f64 v[119:120], v[105:106], s[10:11], v[115:116]
	v_fma_f64 v[121:122], v[105:106], s[20:21], v[113:114]
	;; [unrolled: 1-line block ×4, first 2 shown]
	v_add_f64 v[117:118], v[48:49], v[117:118]
	v_add_f64 v[178:179], v[92:93], v[144:145]
	s_mov_b32 s41, 0xbfefc445
	s_mov_b32 s40, s20
	v_fma_f64 v[166:167], v[107:108], s[18:19], v[146:147]
	v_fma_f64 v[168:169], v[107:108], s[34:35], v[148:149]
	;; [unrolled: 1-line block ×3, first 2 shown]
	s_mov_b32 s28, s18
	v_add_f64 v[142:143], v[38:39], -v[34:35]
	v_mul_f64 v[162:163], v[136:137], s[22:23]
	v_mul_f64 v[164:165], v[136:137], s[4:5]
	;; [unrolled: 1-line block ×3, first 2 shown]
	v_fma_f64 v[172:173], v[107:108], s[40:41], v[152:153]
	v_mul_f64 v[188:189], v[109:110], s[24:25]
	s_mov_b32 s36, 0x4267c47c
	s_mov_b32 s37, 0x3fddbe06
	v_fma_f64 v[192:193], v[140:141], s[34:35], v[158:159]
	v_fma_f64 v[194:195], v[140:141], s[28:29], v[160:161]
	v_add_f64 v[119:120], v[0:1], v[119:120]
	v_add_f64 v[121:122], v[0:1], v[121:122]
	;; [unrolled: 1-line block ×5, first 2 shown]
	s_mov_b32 s1, 0xbfddbe06
	s_mov_b32 s39, 0xbfcea1e5
	;; [unrolled: 1-line block ×4, first 2 shown]
	v_add_f64 v[154:155], v[40:41], v[28:29]
	v_mul_f64 v[180:181], v[138:139], s[16:17]
	v_mul_f64 v[184:185], v[138:139], s[14:15]
	v_mul_f64 v[186:187], v[138:139], s[24:25]
	v_fma_f64 v[196:197], v[140:141], s[0:1], v[162:163]
	v_fma_f64 v[198:199], v[140:141], s[10:11], v[164:165]
	v_add_f64 v[144:145], v[78:79], -v[54:55]
	v_mul_f64 v[204:205], v[111:112], s[22:23]
	v_fma_f64 v[208:209], v[142:143], s[0:1], v[182:183]
	v_fma_f64 v[214:215], v[105:106], s[34:35], v[188:189]
	;; [unrolled: 1-line block ×3, first 2 shown]
	v_add_f64 v[156:157], v[30:31], -v[42:43]
	v_mul_f64 v[218:219], v[109:110], s[22:23]
	v_add_f64 v[166:167], v[166:167], v[119:120]
	v_add_f64 v[121:122], v[168:169], v[121:122]
	;; [unrolled: 1-line block ×7, first 2 shown]
	v_add_f64 v[125:126], v[94:95], -v[70:71]
	v_fma_f64 v[132:133], v[105:106], s[28:29], v[132:133]
	v_mul_f64 v[172:173], v[154:155], s[14:15]
	v_mul_f64 v[200:201], v[154:155], s[24:25]
	;; [unrolled: 1-line block ×3, first 2 shown]
	v_fma_f64 v[206:207], v[142:143], s[26:27], v[180:181]
	v_fma_f64 v[210:211], v[142:143], s[20:21], v[184:185]
	;; [unrolled: 1-line block ×3, first 2 shown]
	s_mov_b32 s43, 0xbfea55e2
	v_fma_f64 v[228:229], v[107:108], s[0:1], v[204:205]
	v_fma_f64 v[204:205], v[107:108], s[36:37], v[204:205]
	s_mov_b32 s42, s10
	v_add_f64 v[188:189], v[0:1], v[188:189]
	v_add_f64 v[117:118], v[68:69], v[92:93]
	v_mul_f64 v[216:217], v[136:137], s[16:17]
	v_add_f64 v[166:167], v[192:193], v[166:167]
	v_add_f64 v[192:193], v[194:195], v[121:122]
	;; [unrolled: 1-line block ×5, first 2 shown]
	v_mul_f64 v[121:122], v[144:145], s[0:1]
	v_add_f64 v[190:191], v[28:29], v[190:191]
	v_add_f64 v[123:124], v[82:83], -v[86:87]
	v_add_f64 v[214:215], v[0:1], v[214:215]
	v_fma_f64 v[220:221], v[156:157], s[40:41], v[172:173]
	v_fma_f64 v[224:225], v[156:157], s[38:39], v[200:201]
	;; [unrolled: 1-line block ×4, first 2 shown]
	v_mul_f64 v[109:110], v[125:126], s[42:43]
	v_fma_f64 v[115:116], v[105:106], s[42:43], v[115:116]
	v_fma_f64 v[113:114], v[105:106], s[40:41], v[113:114]
	;; [unrolled: 1-line block ×3, first 2 shown]
	v_add_f64 v[132:133], v[0:1], v[132:133]
	v_fma_f64 v[152:153], v[107:108], s[20:21], v[152:153]
	v_add_f64 v[188:189], v[204:205], v[188:189]
	v_fma_f64 v[148:149], v[107:108], s[38:39], v[148:149]
	v_fma_f64 v[230:231], v[140:141], s[30:31], v[216:217]
	v_add_f64 v[166:167], v[206:207], v[166:167]
	v_add_f64 v[192:193], v[208:209], v[192:193]
	v_mul_f64 v[208:209], v[111:112], s[4:5]
	v_add_f64 v[111:112], v[72:73], v[170:171]
	v_add_f64 v[194:195], v[210:211], v[194:195]
	;; [unrolled: 1-line block ×3, first 2 shown]
	v_fma_f64 v[212:213], v[105:106], s[36:37], v[218:219]
	v_add_f64 v[190:191], v[16:17], v[190:191]
	v_fma_f64 v[232:233], v[119:120], s[22:23], -v[121:122]
	v_fma_f64 v[105:106], v[105:106], s[0:1], v[218:219]
	v_mul_f64 v[206:207], v[138:139], s[4:5]
	v_fma_f64 v[216:217], v[140:141], s[26:27], v[216:217]
	v_add_f64 v[214:215], v[228:229], v[214:215]
	v_add_f64 v[134:135], v[0:1], v[134:135]
	v_fma_f64 v[218:219], v[107:108], s[28:29], v[146:147]
	v_add_f64 v[113:114], v[0:1], v[113:114]
	v_mul_f64 v[136:137], v[136:137], s[14:15]
	v_fma_f64 v[228:229], v[117:118], s[4:5], -v[109:110]
	v_add_f64 v[146:147], v[90:91], -v[98:99]
	v_add_f64 v[132:133], v[150:151], v[132:133]
	v_mul_f64 v[178:179], v[154:155], s[4:5]
	v_fma_f64 v[158:159], v[140:141], s[38:39], v[158:159]
	v_add_f64 v[166:167], v[220:221], v[166:167]
	v_add_f64 v[220:221], v[0:1], v[115:116]
	;; [unrolled: 1-line block ×7, first 2 shown]
	v_fma_f64 v[224:225], v[107:108], s[10:11], v[208:209]
	v_add_f64 v[190:191], v[12:13], v[190:191]
	v_add_f64 v[226:227], v[4:5], v[232:233]
	v_mul_f64 v[111:112], v[123:124], s[40:41]
	v_fma_f64 v[107:108], v[107:108], s[42:43], v[208:209]
	v_add_f64 v[105:106], v[0:1], v[105:106]
	v_add_f64 v[188:189], v[216:217], v[188:189]
	v_fma_f64 v[216:217], v[142:143], s[42:43], v[206:207]
	v_add_f64 v[134:135], v[152:153], v[134:135]
	v_fma_f64 v[152:153], v[140:141], s[36:37], v[162:163]
	v_fma_f64 v[162:163], v[140:141], s[42:43], v[164:165]
	v_add_f64 v[113:114], v[148:149], v[113:114]
	v_fma_f64 v[160:161], v[140:141], s[18:19], v[160:161]
	v_fma_f64 v[208:209], v[140:141], s[20:21], v[136:137]
	v_mul_f64 v[0:1], v[146:147], s[28:29]
	v_add_f64 v[148:149], v[74:75], -v[102:103]
	v_add_f64 v[164:165], v[218:219], v[220:221]
	v_fma_f64 v[136:137], v[140:141], s[40:41], v[136:137]
	v_add_f64 v[150:151], v[60:61], v[204:205]
	v_fma_f64 v[204:205], v[142:143], s[10:11], v[206:207]
	;; [unrolled: 2-line block ×3, first 2 shown]
	v_add_f64 v[206:207], v[224:225], v[212:213]
	v_mul_f64 v[212:213], v[138:139], s[6:7]
	v_add_f64 v[190:191], v[40:41], v[190:191]
	v_add_f64 v[218:219], v[228:229], v[226:227]
	v_fma_f64 v[220:221], v[115:116], s[14:15], -v[111:112]
	v_add_f64 v[138:139], v[96:97], v[88:89]
	v_add_f64 v[105:106], v[107:108], v[105:106]
	;; [unrolled: 1-line block ×3, first 2 shown]
	v_mul_f64 v[140:141], v[154:155], s[6:7]
	v_add_f64 v[132:133], v[152:153], v[132:133]
	v_fma_f64 v[152:153], v[142:143], s[40:41], v[184:185]
	v_mul_f64 v[154:155], v[154:155], s[16:17]
	v_add_f64 v[160:161], v[160:161], v[113:114]
	v_add_f64 v[176:177], v[18:19], -v[14:15]
	v_mul_hi_u32 v127, 0xaaaaaaab, v104
	v_mul_f64 v[113:114], v[148:149], s[26:27]
	v_add_f64 v[158:159], v[158:159], v[164:165]
	v_fma_f64 v[164:165], v[142:143], s[30:31], v[180:181]
	v_add_f64 v[107:108], v[100:101], v[150:151]
	v_add_f64 v[150:151], v[162:163], v[134:135]
	v_fma_f64 v[162:163], v[142:143], s[34:35], v[186:187]
	v_fma_f64 v[180:181], v[142:143], s[36:37], v[182:183]
	v_add_f64 v[182:183], v[204:205], v[188:189]
	v_add_f64 v[184:185], v[208:209], v[206:207]
	v_fma_f64 v[186:187], v[142:143], s[18:19], v[212:213]
	v_add_f64 v[188:189], v[32:33], v[190:191]
	v_add_f64 v[190:191], v[220:221], v[218:219]
	v_fma_f64 v[204:205], v[138:139], s[6:7], -v[0:1]
	v_add_f64 v[134:135], v[100:101], v[72:73]
	v_fma_f64 v[206:207], v[142:143], s[28:29], v[212:213]
	v_add_f64 v[142:143], v[58:59], -v[62:63]
	v_add_f64 v[105:106], v[136:137], v[105:106]
	v_mul_f64 v[196:197], v[174:175], s[22:23]
	v_mul_f64 v[198:199], v[174:175], s[16:17]
	v_add_f64 v[192:193], v[222:223], v[192:193]
	v_mul_f64 v[222:223], v[174:175], s[4:5]
	v_mul_f64 v[224:225], v[174:175], s[6:7]
	v_add_f64 v[214:215], v[216:217], v[214:215]
	v_fma_f64 v[208:209], v[156:157], s[18:19], v[140:141]
	v_fma_f64 v[212:213], v[156:157], s[28:29], v[140:141]
	v_add_f64 v[107:108], v[96:97], v[107:108]
	v_mul_f64 v[216:217], v[174:175], s[14:15]
	v_add_f64 v[132:133], v[152:153], v[132:133]
	v_add_f64 v[150:151], v[162:163], v[150:151]
	v_fma_f64 v[152:153], v[156:157], s[34:35], v[200:201]
	v_fma_f64 v[162:163], v[156:157], s[36:37], v[202:203]
	v_add_f64 v[158:159], v[164:165], v[158:159]
	v_add_f64 v[160:161], v[180:181], v[160:161]
	v_fma_f64 v[164:165], v[156:157], s[20:21], v[172:173]
	v_fma_f64 v[172:173], v[156:157], s[42:43], v[178:179]
	v_add_f64 v[178:179], v[186:187], v[184:185]
	v_fma_f64 v[180:181], v[156:157], s[30:31], v[154:155]
	v_mul_f64 v[174:175], v[174:175], s[24:25]
	v_fma_f64 v[154:155], v[156:157], s[26:27], v[154:155]
	v_add_f64 v[156:157], v[204:205], v[190:191]
	v_fma_f64 v[186:187], v[134:135], s[16:17], -v[113:114]
	v_add_f64 v[140:141], v[60:61], v[56:57]
	v_mul_f64 v[136:137], v[142:143], s[38:39]
	v_add_f64 v[105:106], v[206:207], v[105:106]
	v_add_f64 v[184:185], v[24:25], v[188:189]
	v_fma_f64 v[170:171], v[176:177], s[0:1], v[196:197]
	v_fma_f64 v[210:211], v[176:177], s[30:31], v[198:199]
	v_add_f64 v[107:108], v[84:85], v[107:108]
	v_fma_f64 v[188:189], v[176:177], s[42:43], v[222:223]
	v_fma_f64 v[190:191], v[176:177], s[18:19], v[224:225]
	;; [unrolled: 1-line block ×4, first 2 shown]
	v_add_f64 v[132:133], v[152:153], v[132:133]
	v_add_f64 v[150:151], v[162:163], v[150:151]
	v_fma_f64 v[152:153], v[176:177], s[10:11], v[222:223]
	v_fma_f64 v[162:163], v[176:177], s[28:29], v[224:225]
	v_add_f64 v[158:159], v[164:165], v[158:159]
	v_add_f64 v[160:161], v[172:173], v[160:161]
	v_fma_f64 v[164:165], v[176:177], s[36:37], v[196:197]
	v_fma_f64 v[172:173], v[176:177], s[26:27], v[198:199]
	v_add_f64 v[178:179], v[180:181], v[178:179]
	v_fma_f64 v[180:181], v[176:177], s[34:35], v[174:175]
	v_fma_f64 v[174:175], v[176:177], s[38:39], v[174:175]
	v_add_f64 v[156:157], v[186:187], v[156:157]
	v_fma_f64 v[176:177], v[140:141], s[24:25], -v[136:137]
	v_add_f64 v[105:106], v[154:155], v[105:106]
	v_add_f64 v[200:201], v[208:209], v[214:215]
	;; [unrolled: 1-line block ×5, first 2 shown]
	v_lshrrev_b32_e32 v127, 1, v127
	v_add_f64 v[154:155], v[170:171], v[166:167]
	v_add_f64 v[166:167], v[210:211], v[192:193]
	;; [unrolled: 1-line block ×4, first 2 shown]
	v_lshl_add_u32 v127, v127, 1, v127
	v_add_f64 v[152:153], v[152:153], v[132:133]
	v_add_f64 v[162:163], v[162:163], v[150:151]
	v_cmp_gt_u32_e64 s1, 3, v128
	v_sub_nc_u32_e32 v127, v104, v127
	v_add_f64 v[158:159], v[164:165], v[158:159]
	v_add_f64 v[160:161], v[172:173], v[160:161]
	;; [unrolled: 1-line block ×9, first 2 shown]
	v_mul_u32_u24_e32 v108, 0x222, v127
	v_mad_u32_u24 v127, 0x68, v128, 0
	v_lshl_add_u32 v150, v108, 3, v127
	ds_write2_b64 v150, v[154:155], v[166:167] offset0:2 offset1:3
	ds_write2_b64 v150, v[170:171], v[168:169] offset0:4 offset1:5
	;; [unrolled: 1-line block ×5, first 2 shown]
	ds_write2_b64 v150, v[172:173], v[164:165] offset1:1
	ds_write_b64 v150, v[104:105] offset:96
	s_and_saveexec_b32 s0, s1
	s_cbranch_execz .LBB0_14
; %bb.13:
	v_mul_f64 v[151:152], v[144:145], s[38:39]
	v_mul_f64 v[161:162], v[144:145], s[26:27]
	;; [unrolled: 1-line block ×22, first 2 shown]
	v_fma_f64 v[191:192], v[119:120], s[24:25], v[151:152]
	v_fma_f64 v[151:152], v[119:120], s[24:25], -v[151:152]
	v_fma_f64 v[201:202], v[119:120], s[16:17], v[161:162]
	v_fma_f64 v[161:162], v[119:120], s[16:17], -v[161:162]
	;; [unrolled: 2-line block ×3, first 2 shown]
	v_fma_f64 v[213:214], v[119:120], s[14:15], -v[183:184]
	v_fma_f64 v[183:184], v[119:120], s[14:15], v[183:184]
	v_fma_f64 v[215:216], v[119:120], s[4:5], -v[144:145]
	v_fma_f64 v[119:120], v[119:120], s[4:5], v[144:145]
	v_add_f64 v[121:122], v[121:122], v[153:154]
	v_fma_f64 v[211:212], v[117:118], s[22:23], v[177:178]
	v_fma_f64 v[177:178], v[117:118], s[22:23], -v[177:178]
	v_fma_f64 v[217:218], v[117:118], s[16:17], v[197:198]
	v_fma_f64 v[197:198], v[117:118], s[16:17], -v[197:198]
	;; [unrolled: 2-line block ×3, first 2 shown]
	v_fma_f64 v[221:222], v[117:118], s[6:7], v[125:126]
	v_add_f64 v[109:110], v[109:110], v[155:156]
	v_mul_f64 v[203:204], v[146:147], s[36:37]
	v_mul_f64 v[146:147], v[146:147], s[30:31]
	v_fma_f64 v[153:154], v[115:116], s[16:17], v[175:176]
	v_add_f64 v[144:145], v[4:5], v[191:192]
	v_add_f64 v[151:152], v[4:5], v[151:152]
	v_fma_f64 v[191:192], v[117:118], s[14:15], v[187:188]
	v_add_f64 v[201:202], v[4:5], v[201:202]
	v_fma_f64 v[187:188], v[117:118], s[14:15], -v[187:188]
	v_add_f64 v[161:162], v[4:5], v[161:162]
	v_add_f64 v[209:210], v[4:5], v[209:210]
	v_add_f64 v[171:172], v[4:5], v[171:172]
	v_add_f64 v[213:214], v[4:5], v[213:214]
	v_fma_f64 v[117:118], v[117:118], s[6:7], -v[125:126]
	v_add_f64 v[125:126], v[4:5], v[183:184]
	v_add_f64 v[183:184], v[4:5], v[215:216]
	;; [unrolled: 1-line block ×4, first 2 shown]
	v_fma_f64 v[175:176], v[115:116], s[16:17], -v[175:176]
	v_fma_f64 v[155:156], v[115:116], s[4:5], v[185:186]
	v_fma_f64 v[185:186], v[115:116], s[4:5], -v[185:186]
	v_mul_f64 v[159:160], v[138:139], s[6:7]
	v_add_f64 v[111:112], v[111:112], v[157:158]
	v_mul_f64 v[179:180], v[148:149], s[36:37]
	v_mul_f64 v[189:190], v[148:149], s[34:35]
	;; [unrolled: 1-line block ×3, first 2 shown]
	v_add_f64 v[144:145], v[211:212], v[144:145]
	v_add_f64 v[151:152], v[177:178], v[151:152]
	v_mul_f64 v[148:149], v[148:149], s[20:21]
	v_add_f64 v[177:178], v[191:192], v[201:202]
	v_fma_f64 v[201:202], v[115:116], s[6:7], -v[205:206]
	v_add_f64 v[161:162], v[187:188], v[161:162]
	v_fma_f64 v[187:188], v[115:116], s[22:23], v[195:196]
	v_add_f64 v[191:192], v[217:218], v[209:210]
	v_fma_f64 v[195:196], v[115:116], s[22:23], -v[195:196]
	v_add_f64 v[171:172], v[197:198], v[171:172]
	v_fma_f64 v[197:198], v[115:116], s[6:7], v[205:206]
	v_fma_f64 v[205:206], v[115:116], s[24:25], v[123:124]
	v_add_f64 v[207:208], v[207:208], v[213:214]
	v_fma_f64 v[115:116], v[115:116], s[24:25], -v[123:124]
	v_add_f64 v[117:118], v[117:118], v[183:184]
	v_add_f64 v[123:124], v[219:220], v[125:126]
	;; [unrolled: 1-line block ×4, first 2 shown]
	v_fma_f64 v[121:122], v[138:139], s[4:5], v[173:174]
	v_fma_f64 v[173:174], v[138:139], s[4:5], -v[173:174]
	v_fma_f64 v[109:110], v[134:135], s[6:7], v[169:170]
	v_fma_f64 v[183:184], v[138:139], s[22:23], -v[203:204]
	v_add_f64 v[125:126], v[153:154], v[144:145]
	v_add_f64 v[144:145], v[175:176], v[151:152]
	v_fma_f64 v[151:152], v[138:139], s[24:25], v[181:182]
	v_add_f64 v[153:154], v[155:156], v[177:178]
	v_fma_f64 v[155:156], v[138:139], s[24:25], -v[181:182]
	v_add_f64 v[157:158], v[185:186], v[161:162]
	v_fma_f64 v[161:162], v[134:135], s[6:7], -v[169:170]
	v_fma_f64 v[169:170], v[138:139], s[14:15], v[193:194]
	v_add_f64 v[175:176], v[187:188], v[191:192]
	v_fma_f64 v[177:178], v[138:139], s[14:15], -v[193:194]
	v_add_f64 v[171:172], v[195:196], v[171:172]
	v_fma_f64 v[181:182], v[138:139], s[22:23], v[203:204]
	v_fma_f64 v[185:186], v[138:139], s[16:17], v[146:147]
	v_add_f64 v[187:188], v[201:202], v[207:208]
	v_fma_f64 v[138:139], v[138:139], s[16:17], -v[146:147]
	v_add_f64 v[115:116], v[115:116], v[117:118]
	v_add_f64 v[123:124], v[197:198], v[123:124]
	;; [unrolled: 1-line block ×3, first 2 shown]
	v_mul_f64 v[163:164], v[134:135], s[16:17]
	v_add_f64 v[0:1], v[0:1], v[159:160]
	v_add_f64 v[4:5], v[111:112], v[4:5]
	v_mul_f64 v[167:168], v[142:143], s[20:21]
	v_add_f64 v[119:120], v[121:122], v[125:126]
	v_add_f64 v[121:122], v[173:174], v[144:145]
	v_mul_f64 v[111:112], v[142:143], s[28:29]
	v_fma_f64 v[125:126], v[134:135], s[22:23], v[179:180]
	v_add_f64 v[144:145], v[151:152], v[153:154]
	v_fma_f64 v[146:147], v[134:135], s[22:23], -v[179:180]
	v_add_f64 v[151:152], v[155:156], v[157:158]
	v_mul_f64 v[153:154], v[142:143], s[10:11]
	v_fma_f64 v[155:156], v[134:135], s[24:25], v[189:190]
	v_add_f64 v[157:158], v[169:170], v[175:176]
	v_fma_f64 v[159:160], v[134:135], s[24:25], -v[189:190]
	v_add_f64 v[169:170], v[177:178], v[171:172]
	v_mul_f64 v[171:172], v[142:143], s[26:27]
	v_fma_f64 v[175:176], v[134:135], s[4:5], -v[199:200]
	v_add_f64 v[177:178], v[183:184], v[187:188]
	v_mul_f64 v[142:143], v[142:143], s[36:37]
	v_fma_f64 v[179:180], v[134:135], s[14:15], -v[148:149]
	v_add_f64 v[115:116], v[138:139], v[115:116]
	v_fma_f64 v[173:174], v[134:135], s[4:5], v[199:200]
	v_add_f64 v[123:124], v[181:182], v[123:124]
	v_fma_f64 v[134:135], v[134:135], s[14:15], v[148:149]
	v_add_f64 v[117:118], v[185:186], v[117:118]
	v_mul_f64 v[165:166], v[140:141], s[24:25]
	v_add_f64 v[113:114], v[113:114], v[163:164]
	v_add_f64 v[0:1], v[0:1], v[4:5]
	v_fma_f64 v[4:5], v[140:141], s[14:15], v[167:168]
	v_add_f64 v[109:110], v[109:110], v[119:120]
	v_fma_f64 v[119:120], v[140:141], s[14:15], -v[167:168]
	v_add_f64 v[121:122], v[161:162], v[121:122]
	v_add_f64 v[125:126], v[125:126], v[144:145]
	v_add_f64 v[144:145], v[146:147], v[151:152]
	v_fma_f64 v[146:147], v[140:141], s[4:5], v[153:154]
	v_add_f64 v[148:149], v[155:156], v[157:158]
	v_fma_f64 v[151:152], v[140:141], s[4:5], -v[153:154]
	v_add_f64 v[153:154], v[159:160], v[169:170]
	v_fma_f64 v[157:158], v[140:141], s[16:17], -v[171:172]
	v_add_f64 v[159:160], v[175:176], v[177:178]
	v_fma_f64 v[161:162], v[140:141], s[22:23], -v[142:143]
	v_fma_f64 v[138:139], v[140:141], s[6:7], v[111:112]
	v_add_f64 v[115:116], v[179:180], v[115:116]
	v_fma_f64 v[111:112], v[140:141], s[6:7], -v[111:112]
	v_fma_f64 v[155:156], v[140:141], s[16:17], v[171:172]
	v_add_f64 v[123:124], v[173:174], v[123:124]
	v_fma_f64 v[140:141], v[140:141], s[22:23], v[142:143]
	v_add_f64 v[117:118], v[134:135], v[117:118]
	v_add_f64 v[134:135], v[136:137], v[165:166]
	;; [unrolled: 1-line block ×3, first 2 shown]
	v_add_nc_u32_e32 v127, 0xfd8, v150
	v_add_f64 v[4:5], v[4:5], v[109:110]
	v_add_nc_u32_e32 v129, 0xfe8, v150
	v_add_f64 v[109:110], v[119:120], v[121:122]
	v_add_nc_u32_e32 v136, 0x1018, v150
	v_add_nc_u32_e32 v137, 0x1028, v150
	v_add_f64 v[121:122], v[151:152], v[153:154]
	v_add_f64 v[119:120], v[157:158], v[159:160]
	;; [unrolled: 1-line block ×9, first 2 shown]
	v_add_nc_u32_e32 v134, 0xff8, v150
	v_add_nc_u32_e32 v135, 0x1008, v150
	ds_write2_b64 v127, v[106:107], v[132:133] offset1:1
	ds_write2_b64 v129, v[115:116], v[119:120] offset1:1
	;; [unrolled: 1-line block ×6, first 2 shown]
	ds_write_b64 v150, v[0:1] offset:4152
.LBB0_14:
	s_or_b32 exec_lo, exec_lo, s0
	v_lshlrev_b32_e32 v129, 3, v108
	v_lshlrev_b32_e32 v1, 3, v128
	s_waitcnt lgkmcnt(0)
	s_barrier
	buffer_gl0_inv
	v_cmp_gt_u32_e64 s0, 26, v128
	v_add3_u32 v138, 0, v1, v129
	v_add3_u32 v139, 0, v129, v1
	v_add_nc_u32_e32 v4, 0x800, v138
	v_add_nc_u32_e32 v0, 0x400, v138
	ds_read2_b64 v[108:111], v138 offset0:117 offset1:182
	ds_read2_b64 v[112:115], v138 offset0:39 offset1:78
	ds_read2_b64 v[116:119], v4 offset0:43 offset1:108
	ds_read2_b64 v[120:123], v0 offset0:93 offset1:132
	ds_read2_b64 v[124:127], v4 offset0:147 offset1:186
	ds_read_b64 v[134:135], v139
	ds_read_b64 v[136:137], v138 offset:3848
	s_and_saveexec_b32 s4, s0
	s_cbranch_execz .LBB0_16
; %bb.15:
	ds_read2_b64 v[104:107], v0 offset0:28 offset1:210
	ds_read_b64 v[132:133], v138 offset:4160
.LBB0_16:
	s_or_b32 exec_lo, exec_lo, s4
	v_add_f64 v[0:1], v[66:67], v[2:3]
	v_add_f64 v[148:149], v[28:29], -v[40:41]
	v_add_f64 v[28:29], v[78:79], v[6:7]
	v_add_f64 v[64:65], v[64:65], -v[8:9]
	v_add_f64 v[48:49], v[48:49], -v[20:21]
	v_add_f64 v[20:21], v[86:87], v[82:83]
	s_mov_b32 s44, 0x4267c47c
	s_mov_b32 s24, 0x42a4c3d2
	s_mov_b32 s28, 0x66966769
	s_mov_b32 s18, 0x2ef20147
	s_mov_b32 s22, 0x24c2f84
	s_mov_b32 s40, 0x4bc48dbf
	s_mov_b32 s45, 0xbfddbe06
	s_mov_b32 s25, 0xbfea55e2
	s_mov_b32 s29, 0xbfefc445
	s_mov_b32 s19, 0xbfedeba7
	s_mov_b32 s23, 0xbfe5384d
	s_mov_b32 s41, 0xbfcea1e5
	v_add_f64 v[66:67], v[10:11], v[66:67]
	v_add_f64 v[140:141], v[26:27], v[46:47]
	v_add_f64 v[24:25], v[44:45], -v[24:25]
	v_add_f64 v[144:145], v[36:37], -v[32:33]
	v_add_f64 v[0:1], v[50:51], v[0:1]
	v_add_f64 v[36:37], v[54:55], v[78:79]
	v_add_f64 v[28:29], v[94:95], v[28:29]
	v_add_f64 v[44:45], v[92:93], -v[68:69]
	v_add_f64 v[8:9], v[72:73], -v[100:101]
	v_mul_f64 v[68:69], v[64:65], s[24:25]
	v_mul_f64 v[72:73], v[64:65], s[28:29]
	;; [unrolled: 1-line block ×3, first 2 shown]
	s_mov_b32 s4, 0xe00740e9
	s_mov_b32 s6, 0x1ea71119
	;; [unrolled: 1-line block ×14, first 2 shown]
	v_add_f64 v[0:1], v[46:47], v[0:1]
	v_add_f64 v[46:47], v[76:77], -v[52:53]
	v_add_f64 v[82:83], v[82:83], v[28:29]
	v_mul_f64 v[52:53], v[64:65], s[44:45]
	v_mul_f64 v[76:77], v[64:65], s[18:19]
	;; [unrolled: 1-line block ×3, first 2 shown]
	s_mov_b32 s26, s28
	s_mov_b32 s30, s44
	v_add_f64 v[50:51], v[22:23], v[50:51]
	v_add_f64 v[151:152], v[16:17], -v[12:13]
	v_add_f64 v[32:33], v[70:71], v[94:95]
	v_add_f64 v[40:41], v[80:81], -v[84:85]
	;; [unrolled: 2-line block ×3, first 2 shown]
	v_add_f64 v[4:5], v[102:103], v[74:75]
	v_mul_f64 v[80:81], v[48:49], s[24:25]
	v_mul_f64 v[84:85], v[48:49], s[18:19]
	v_mul_f64 v[88:89], v[48:49], s[40:41]
	v_mul_f64 v[92:93], v[48:49], s[36:37]
	v_mul_f64 v[94:95], v[48:49], s[26:27]
	v_mul_f64 v[96:97], v[48:49], s[30:31]
	v_fma_f64 v[183:184], v[66:67], s[6:7], v[68:69]
	v_add_f64 v[0:1], v[38:39], v[0:1]
	v_mul_f64 v[48:49], v[46:47], s[44:45]
	v_add_f64 v[82:83], v[90:91], v[82:83]
	v_fma_f64 v[181:182], v[66:67], s[4:5], v[52:53]
	v_fma_f64 v[52:53], v[66:67], s[4:5], -v[52:53]
	v_fma_f64 v[68:69], v[66:67], s[6:7], -v[68:69]
	v_fma_f64 v[185:186], v[66:67], s[10:11], v[72:73]
	v_fma_f64 v[72:73], v[66:67], s[10:11], -v[72:73]
	v_fma_f64 v[187:188], v[66:67], s[14:15], v[76:77]
	;; [unrolled: 2-line block ×4, first 2 shown]
	v_fma_f64 v[64:65], v[66:67], s[20:21], -v[64:65]
	s_mov_b32 s43, 0x3fedeba7
	s_mov_b32 s42, s18
	v_add_f64 v[142:143], v[34:35], v[38:39]
	v_mul_f64 v[100:101], v[24:25], s[28:29]
	v_mul_f64 v[153:154], v[24:25], s[40:41]
	v_mul_f64 v[155:156], v[24:25], s[42:43]
	v_mul_f64 v[157:158], v[24:25], s[30:31]
	v_mul_f64 v[159:160], v[24:25], s[24:25]
	v_add_f64 v[0:1], v[30:31], v[0:1]
	v_mul_f64 v[24:25], v[24:25], s[22:23]
	v_add_f64 v[74:75], v[74:75], v[82:83]
	v_mul_f64 v[38:39], v[44:45], s[24:25]
	v_fma_f64 v[66:67], v[50:51], s[6:7], v[80:81]
	v_fma_f64 v[80:81], v[50:51], s[6:7], -v[80:81]
	v_fma_f64 v[191:192], v[50:51], s[14:15], v[84:85]
	v_fma_f64 v[84:85], v[50:51], s[14:15], -v[84:85]
	;; [unrolled: 2-line block ×6, first 2 shown]
	v_add_f64 v[82:83], v[2:3], v[181:182]
	v_fma_f64 v[209:210], v[36:37], s[4:5], v[48:49]
	v_add_f64 v[52:53], v[2:3], v[52:53]
	v_add_f64 v[183:184], v[2:3], v[183:184]
	;; [unrolled: 1-line block ×13, first 2 shown]
	s_mov_b32 s39, 0x3fcea1e5
	s_mov_b32 s38, s40
	v_add_f64 v[146:147], v[42:43], v[30:31]
	v_mul_f64 v[161:162], v[144:145], s[18:19]
	v_mul_f64 v[163:164], v[144:145], s[36:37]
	;; [unrolled: 1-line block ×6, first 2 shown]
	v_fma_f64 v[96:97], v[140:141], s[10:11], v[100:101]
	v_fma_f64 v[201:202], v[140:141], s[20:21], v[153:154]
	v_fma_f64 v[153:154], v[140:141], s[20:21], -v[153:154]
	v_fma_f64 v[207:208], v[140:141], s[16:17], v[24:25]
	v_add_f64 v[0:1], v[14:15], v[0:1]
	v_fma_f64 v[24:25], v[140:141], s[16:17], -v[24:25]
	v_add_f64 v[66:67], v[66:67], v[82:83]
	v_fma_f64 v[211:212], v[32:33], s[6:7], v[38:39]
	v_add_f64 v[209:210], v[6:7], v[209:210]
	v_add_f64 v[68:69], v[84:85], v[68:69]
	v_fma_f64 v[100:101], v[140:141], s[10:11], -v[100:101]
	v_add_f64 v[2:3], v[50:51], v[2:3]
	v_add_f64 v[50:51], v[62:63], v[64:65]
	;; [unrolled: 1-line block ×4, first 2 shown]
	s_mov_b32 s35, 0x3fea55e2
	s_mov_b32 s34, s24
	v_mul_f64 v[173:174], v[148:149], s[26:27]
	v_mul_f64 v[144:145], v[144:145], s[34:35]
	;; [unrolled: 1-line block ×3, first 2 shown]
	v_fma_f64 v[203:204], v[140:141], s[14:15], v[155:156]
	v_fma_f64 v[155:156], v[140:141], s[14:15], -v[155:156]
	v_fma_f64 v[181:182], v[140:141], s[4:5], v[157:158]
	v_fma_f64 v[157:158], v[140:141], s[4:5], -v[157:158]
	;; [unrolled: 2-line block ×3, first 2 shown]
	v_add_f64 v[0:1], v[42:43], v[0:1]
	v_fma_f64 v[140:141], v[142:143], s[14:15], v[161:162]
	v_fma_f64 v[42:43], v[142:143], s[14:15], -v[161:162]
	v_fma_f64 v[74:75], v[142:143], s[16:17], v[163:164]
	v_fma_f64 v[82:83], v[142:143], s[16:17], -v[163:164]
	;; [unrolled: 2-line block ×3, first 2 shown]
	v_fma_f64 v[165:166], v[142:143], s[10:11], v[167:168]
	v_add_f64 v[84:85], v[193:194], v[185:186]
	v_add_f64 v[72:73], v[88:89], v[72:73]
	;; [unrolled: 1-line block ×8, first 2 shown]
	v_fma_f64 v[66:67], v[142:143], s[20:21], v[169:170]
	v_fma_f64 v[94:95], v[142:143], s[20:21], -v[169:170]
	v_add_f64 v[169:170], v[211:212], v[209:210]
	v_add_f64 v[68:69], v[153:154], v[68:69]
	;; [unrolled: 1-line block ×5, first 2 shown]
	v_fma_f64 v[34:35], v[142:143], s[10:11], -v[167:168]
	v_fma_f64 v[167:168], v[20:21], s[10:11], v[30:31]
	v_mul_f64 v[171:172], v[148:149], s[22:23]
	v_add_f64 v[52:53], v[100:101], v[52:53]
	v_add_f64 v[80:81], v[201:202], v[80:81]
	v_mul_f64 v[175:176], v[148:149], s[24:25]
	v_mul_f64 v[177:178], v[148:149], s[38:39]
	;; [unrolled: 1-line block ×3, first 2 shown]
	v_fma_f64 v[96:97], v[142:143], s[6:7], v[144:145]
	v_fma_f64 v[142:143], v[142:143], s[6:7], -v[144:145]
	v_add_f64 v[84:85], v[203:204], v[84:85]
	v_add_f64 v[72:73], v[155:156], v[72:73]
	;; [unrolled: 1-line block ×8, first 2 shown]
	v_mul_f64 v[64:65], v[148:149], s[18:19]
	v_fma_f64 v[140:141], v[146:147], s[10:11], -v[173:174]
	v_fma_f64 v[153:154], v[12:13], s[14:15], v[28:29]
	v_add_f64 v[0:1], v[26:27], v[0:1]
	v_mul_f64 v[26:27], v[8:9], s[22:23]
	v_add_f64 v[155:156], v[167:168], v[169:170]
	v_add_f64 v[68:69], v[82:83], v[68:69]
	;; [unrolled: 1-line block ×3, first 2 shown]
	v_fma_f64 v[100:101], v[146:147], s[16:17], -v[171:172]
	v_fma_f64 v[102:103], v[146:147], s[10:11], v[173:174]
	v_add_f64 v[42:43], v[42:43], v[52:53]
	v_add_f64 v[52:53], v[74:75], v[80:81]
	v_fma_f64 v[144:145], v[146:147], s[16:17], v[171:172]
	v_add_f64 v[2:3], v[142:143], v[2:3]
	v_add_f64 v[74:75], v[161:162], v[84:85]
	;; [unrolled: 1-line block ×8, first 2 shown]
	v_fma_f64 v[82:83], v[146:147], s[6:7], -v[175:176]
	v_fma_f64 v[84:85], v[146:147], s[4:5], v[179:180]
	v_fma_f64 v[88:89], v[146:147], s[4:5], -v[179:180]
	v_fma_f64 v[90:91], v[146:147], s[14:15], v[64:65]
	v_add_f64 v[0:1], v[22:23], v[0:1]
	v_add_f64 v[22:23], v[56:57], -v[60:61]
	v_fma_f64 v[60:61], v[146:147], s[20:21], -v[177:178]
	v_fma_f64 v[64:65], v[146:147], s[14:15], -v[64:65]
	v_add_f64 v[92:93], v[14:15], v[18:19]
	v_mul_f64 v[94:95], v[151:152], s[40:41]
	v_mul_f64 v[96:97], v[151:152], s[30:31]
	v_add_f64 v[68:69], v[140:141], v[68:69]
	v_mul_f64 v[140:141], v[151:152], s[26:27]
	v_add_f64 v[24:25], v[86:87], v[24:25]
	v_add_f64 v[86:87], v[153:154], v[155:156]
	v_fma_f64 v[142:143], v[4:5], s[16:17], v[26:27]
	v_add_f64 v[14:15], v[62:63], v[58:59]
	v_fma_f64 v[148:149], v[146:147], s[6:7], v[175:176]
	v_fma_f64 v[56:57], v[146:147], s[20:21], v[177:178]
	v_mul_f64 v[98:99], v[151:152], s[22:23]
	v_add_f64 v[42:43], v[100:101], v[42:43]
	v_add_f64 v[52:53], v[102:103], v[52:53]
	v_mul_f64 v[100:101], v[151:152], s[34:35]
	v_mul_f64 v[102:103], v[151:152], s[18:19]
	v_add_f64 v[50:51], v[144:145], v[50:51]
	v_add_f64 v[58:59], v[82:83], v[72:73]
	;; [unrolled: 1-line block ×3, first 2 shown]
	v_mul_f64 v[18:19], v[22:23], s[40:41]
	v_add_f64 v[34:35], v[60:61], v[34:35]
	v_add_f64 v[60:61], v[84:85], v[66:67]
	;; [unrolled: 1-line block ×4, first 2 shown]
	v_fma_f64 v[64:65], v[92:93], s[20:21], v[94:95]
	v_fma_f64 v[72:73], v[92:93], s[20:21], -v[94:95]
	v_fma_f64 v[76:77], v[92:93], s[4:5], v[96:97]
	v_fma_f64 v[78:79], v[92:93], s[4:5], -v[96:97]
	v_fma_f64 v[96:97], v[92:93], s[10:11], -v[140:141]
	v_add_f64 v[24:25], v[70:71], v[24:25]
	v_add_f64 v[70:71], v[142:143], v[86:87]
	;; [unrolled: 1-line block ×4, first 2 shown]
	v_fma_f64 v[80:81], v[92:93], s[16:17], v[98:99]
	v_fma_f64 v[94:95], v[92:93], s[10:11], v[140:141]
	v_fma_f64 v[82:83], v[92:93], s[16:17], -v[98:99]
	v_fma_f64 v[84:85], v[92:93], s[6:7], v[100:101]
	v_fma_f64 v[90:91], v[92:93], s[14:15], v[102:103]
	v_fma_f64 v[88:89], v[92:93], s[6:7], -v[100:101]
	v_fma_f64 v[92:93], v[92:93], s[14:15], -v[102:103]
	v_add_f64 v[10:11], v[10:11], v[0:1]
	v_fma_f64 v[86:87], v[14:15], s[20:21], v[18:19]
	s_waitcnt lgkmcnt(0)
	s_barrier
	buffer_gl0_inv
	v_add_f64 v[50:51], v[64:65], v[50:51]
	v_add_f64 v[0:1], v[72:73], v[42:43]
	;; [unrolled: 1-line block ×13, first 2 shown]
	v_add_nc_u32_e32 v57, 39, v128
	v_add_f64 v[24:25], v[86:87], v[70:71]
	ds_write2_b64 v150, v[10:11], v[50:51] offset1:1
	ds_write2_b64 v150, v[42:43], v[64:65] offset0:2 offset1:3
	ds_write2_b64 v150, v[68:69], v[60:61] offset0:4 offset1:5
	;; [unrolled: 1-line block ×5, first 2 shown]
	ds_write_b64 v150, v[0:1] offset:96
	s_and_saveexec_b32 s33, s1
	s_cbranch_execz .LBB0_18
; %bb.17:
	v_mul_f64 v[10:11], v[36:37], s[4:5]
	v_mul_f64 v[34:35], v[46:47], s[24:25]
	;; [unrolled: 1-line block ×18, first 2 shown]
	v_add_f64 v[10:11], v[10:11], -v[48:49]
	v_fma_f64 v[48:49], v[36:37], s[6:7], v[34:35]
	v_fma_f64 v[34:35], v[36:37], s[6:7], -v[34:35]
	v_fma_f64 v[76:77], v[36:37], s[10:11], v[42:43]
	v_fma_f64 v[42:43], v[36:37], s[10:11], -v[42:43]
	;; [unrolled: 2-line block ×5, first 2 shown]
	v_add_f64 v[38:39], v[54:55], -v[38:39]
	v_fma_f64 v[46:47], v[32:33], s[14:15], v[60:61]
	v_fma_f64 v[54:55], v[32:33], s[14:15], -v[60:61]
	v_fma_f64 v[60:61], v[32:33], s[20:21], v[62:63]
	v_fma_f64 v[62:63], v[32:33], s[20:21], -v[62:63]
	;; [unrolled: 2-line block ×5, first 2 shown]
	v_add_f64 v[10:11], v[6:7], v[10:11]
	v_add_f64 v[44:45], v[6:7], v[48:49]
	;; [unrolled: 1-line block ×11, first 2 shown]
	v_add_f64 v[30:31], v[58:59], -v[30:31]
	v_fma_f64 v[36:37], v[20:21], s[20:21], v[68:69]
	v_fma_f64 v[58:59], v[20:21], s[20:21], -v[68:69]
	v_fma_f64 v[68:69], v[20:21], s[14:15], v[70:71]
	v_fma_f64 v[70:71], v[20:21], s[14:15], -v[70:71]
	;; [unrolled: 2-line block ×5, first 2 shown]
	v_add_f64 v[10:11], v[38:39], v[10:11]
	v_add_f64 v[38:39], v[46:47], v[44:45]
	;; [unrolled: 1-line block ×11, first 2 shown]
	v_mul_f64 v[32:33], v[12:13], s[14:15]
	v_mul_f64 v[54:55], v[16:17], s[36:37]
	v_mul_f64 v[60:61], v[16:17], s[30:31]
	v_mul_f64 v[62:63], v[16:17], s[28:29]
	v_mul_f64 v[64:65], v[16:17], s[38:39]
	v_mul_f64 v[16:17], v[16:17], s[34:35]
	v_mul_f64 v[66:67], v[8:9], s[26:27]
	v_add_f64 v[10:11], v[30:31], v[10:11]
	v_add_f64 v[30:31], v[36:37], v[38:39]
	;; [unrolled: 1-line block ×11, first 2 shown]
	v_add_f64 v[20:21], v[32:33], -v[28:29]
	v_fma_f64 v[28:29], v[12:13], s[16:17], v[54:55]
	v_fma_f64 v[32:33], v[12:13], s[16:17], -v[54:55]
	v_fma_f64 v[50:51], v[12:13], s[4:5], v[60:61]
	v_fma_f64 v[52:53], v[12:13], s[4:5], -v[60:61]
	;; [unrolled: 2-line block ×5, first 2 shown]
	v_mul_f64 v[16:17], v[4:5], s[16:17]
	v_mul_f64 v[68:69], v[8:9], s[24:25]
	;; [unrolled: 1-line block ×5, first 2 shown]
	v_add_f64 v[10:11], v[20:21], v[10:11]
	v_add_f64 v[20:21], v[28:29], v[30:31]
	v_add_f64 v[28:29], v[32:33], v[34:35]
	v_add_f64 v[30:31], v[50:51], v[36:37]
	v_add_f64 v[32:33], v[52:53], v[38:39]
	v_add_f64 v[34:35], v[54:55], v[40:41]
	v_add_f64 v[36:37], v[58:59], v[42:43]
	v_add_f64 v[38:39], v[60:61], v[44:45]
	v_add_f64 v[40:41], v[62:63], v[46:47]
	v_add_f64 v[42:43], v[64:65], v[48:49]
	v_add_f64 v[6:7], v[12:13], v[6:7]
	v_add_f64 v[12:13], v[16:17], -v[26:27]
	v_fma_f64 v[16:17], v[4:5], s[10:11], v[66:67]
	v_fma_f64 v[26:27], v[4:5], s[10:11], -v[66:67]
	v_fma_f64 v[44:45], v[4:5], s[6:7], v[68:69]
	v_fma_f64 v[46:47], v[4:5], s[6:7], -v[68:69]
	;; [unrolled: 2-line block ×5, first 2 shown]
	v_mul_f64 v[8:9], v[22:23], s[30:31]
	v_mul_f64 v[60:61], v[22:23], s[22:23]
	;; [unrolled: 1-line block ×6, first 2 shown]
	v_add_f64 v[10:11], v[12:13], v[10:11]
	v_add_f64 v[12:13], v[16:17], v[20:21]
	;; [unrolled: 1-line block ×11, first 2 shown]
	v_fma_f64 v[6:7], v[14:15], s[4:5], v[8:9]
	v_fma_f64 v[38:39], v[14:15], s[16:17], v[60:61]
	v_fma_f64 v[8:9], v[14:15], s[4:5], -v[8:9]
	v_fma_f64 v[40:41], v[14:15], s[6:7], v[62:63]
	v_fma_f64 v[44:45], v[14:15], s[14:15], v[64:65]
	v_fma_f64 v[42:43], v[14:15], s[6:7], -v[62:63]
	v_fma_f64 v[46:47], v[14:15], s[10:11], v[22:23]
	v_fma_f64 v[22:23], v[14:15], s[10:11], -v[22:23]
	v_fma_f64 v[48:49], v[14:15], s[14:15], -v[64:65]
	;; [unrolled: 1-line block ×3, first 2 shown]
	v_add_f64 v[18:19], v[66:67], -v[18:19]
	v_add_f64 v[6:7], v[6:7], v[12:13]
	v_add_f64 v[12:13], v[38:39], v[20:21]
	;; [unrolled: 1-line block ×11, first 2 shown]
	v_mul_u32_u24_e32 v18, 0x68, v57
	v_add3_u32 v18, 0, v18, v129
	ds_write2_b64 v18, v[2:3], v[24:25] offset1:1
	ds_write2_b64 v18, v[6:7], v[12:13] offset0:2 offset1:3
	ds_write2_b64 v18, v[16:17], v[28:29] offset0:4 offset1:5
	;; [unrolled: 1-line block ×5, first 2 shown]
	ds_write_b64 v18, v[10:11] offset:96
.LBB0_18:
	s_or_b32 exec_lo, exec_lo, s33
	v_add_nc_u32_e32 v16, 0x800, v138
	v_add_nc_u32_e32 v26, 0x400, v138
	s_waitcnt lgkmcnt(0)
	s_barrier
	buffer_gl0_inv
	ds_read2_b64 v[4:7], v138 offset0:117 offset1:182
	ds_read2_b64 v[12:15], v16 offset0:43 offset1:108
	ds_read2_b64 v[8:11], v138 offset0:39 offset1:78
	ds_read2_b64 v[20:23], v26 offset0:93 offset1:132
	ds_read2_b64 v[16:19], v16 offset0:147 offset1:186
	ds_read_b64 v[27:28], v139
	ds_read_b64 v[29:30], v138 offset:3848
	s_and_saveexec_b32 s1, s0
	s_cbranch_execz .LBB0_20
; %bb.19:
	ds_read2_b64 v[0:3], v26 offset0:28 offset1:210
	ds_read_b64 v[24:25], v138 offset:4160
.LBB0_20:
	s_or_b32 exec_lo, exec_lo, s1
	v_and_b32_e32 v26, 0xff, v128
	v_add_nc_u32_e32 v58, 0x4e, v128
	v_add_nc_u32_e32 v59, 0x75, v128
	v_and_b32_e32 v31, 0xff, v57
	s_mov_b32 s4, 0xe8584caa
	v_mul_lo_u16 v26, 0x4f, v26
	v_and_b32_e32 v32, 0xff, v58
	v_and_b32_e32 v33, 0xff, v59
	v_mul_lo_u16 v31, 0x4f, v31
	s_mov_b32 s5, 0x3febb67a
	v_lshrrev_b16 v97, 10, v26
	v_mul_lo_u16 v32, 0x4f, v32
	v_mul_lo_u16 v26, 0x4f, v33
	v_lshrrev_b16 v98, 10, v31
	s_mov_b32 s7, 0xbfebb67a
	v_mul_lo_u16 v31, v97, 13
	v_lshrrev_b16 v99, 10, v32
	v_mov_b32_e32 v32, 5
	v_lshrrev_b16 v100, 10, v26
	v_mul_lo_u16 v26, v98, 13
	v_sub_nc_u16 v101, v128, v31
	v_mul_lo_u16 v33, v99, 13
	s_mov_b32 s6, s4
	v_mul_lo_u16 v31, v100, 13
	v_sub_nc_u16 v102, v57, v26
	v_lshlrev_b32_sdwa v26, v32, v101 dst_sel:DWORD dst_unused:UNUSED_PAD src0_sel:DWORD src1_sel:BYTE_0
	v_sub_nc_u16 v103, v58, v33
	s_clause 0x1
	global_load_dwordx4 v[47:50], v26, s[8:9] offset:16
	global_load_dwordx4 v[51:54], v26, s[8:9]
	v_sub_nc_u16 v140, v59, v31
	v_lshlrev_b32_sdwa v31, v32, v102 dst_sel:DWORD dst_unused:UNUSED_PAD src0_sel:DWORD src1_sel:BYTE_0
	v_lshlrev_b32_sdwa v33, v32, v103 dst_sel:DWORD dst_unused:UNUSED_PAD src0_sel:DWORD src1_sel:BYTE_0
	;; [unrolled: 1-line block ×3, first 2 shown]
	s_clause 0x5
	global_load_dwordx4 v[61:64], v31, s[8:9]
	global_load_dwordx4 v[65:68], v31, s[8:9] offset:16
	global_load_dwordx4 v[69:72], v33, s[8:9]
	global_load_dwordx4 v[73:76], v33, s[8:9] offset:16
	;; [unrolled: 2-line block ×3, first 2 shown]
	v_add_nc_u32_e32 v26, 0x9c, v128
	v_and_b32_e32 v31, 0xff, v26
	v_mul_lo_u16 v31, 0x4f, v31
	v_lshrrev_b16 v141, 10, v31
	v_mul_lo_u16 v31, v141, 13
	v_sub_nc_u16 v60, v26, v31
	v_lshlrev_b32_sdwa v31, v32, v60 dst_sel:DWORD dst_unused:UNUSED_PAD src0_sel:DWORD src1_sel:BYTE_0
	s_clause 0x1
	global_load_dwordx4 v[85:88], v31, s[8:9]
	global_load_dwordx4 v[89:92], v31, s[8:9] offset:16
	s_waitcnt vmcnt(0) lgkmcnt(0)
	s_barrier
	buffer_gl0_inv
	v_mul_f64 v[33:34], v[14:15], v[49:50]
	v_mul_f64 v[31:32], v[6:7], v[53:54]
	;; [unrolled: 1-line block ×16, first 2 shown]
	v_fma_f64 v[45:46], v[118:119], v[47:48], -v[33:34]
	v_fma_f64 v[43:44], v[110:111], v[51:52], -v[31:32]
	v_fma_f64 v[6:7], v[6:7], v[51:52], v[53:54]
	v_fma_f64 v[33:34], v[120:121], v[61:62], -v[35:36]
	v_fma_f64 v[39:40], v[124:125], v[65:66], -v[37:38]
	;; [unrolled: 1-line block ×6, first 2 shown]
	v_fma_f64 v[14:15], v[14:15], v[47:48], v[49:50]
	v_fma_f64 v[20:21], v[20:21], v[61:62], v[63:64]
	;; [unrolled: 1-line block ×7, first 2 shown]
	v_and_b32_e32 v95, 0xffff, v97
	v_and_b32_e32 v96, 0xffff, v98
	;; [unrolled: 1-line block ×3, first 2 shown]
	v_mul_f64 v[55:56], v[2:3], v[87:88]
	v_mul_f64 v[61:62], v[106:107], v[87:88]
	v_add_f64 v[49:50], v[43:44], v[45:46]
	v_mul_f64 v[63:64], v[24:25], v[91:92]
	v_add_f64 v[65:66], v[134:135], v[43:44]
	v_add_f64 v[51:52], v[33:34], v[39:40]
	v_mul_f64 v[91:92], v[132:133], v[91:92]
	v_add_f64 v[53:54], v[35:36], v[41:42]
	v_add_f64 v[69:70], v[112:113], v[33:34]
	v_add_f64 v[29:30], v[31:32], v[37:38]
	v_add_f64 v[67:68], v[6:7], -v[14:15]
	v_add_f64 v[71:72], v[114:115], v[35:36]
	v_add_f64 v[77:78], v[20:21], -v[16:17]
	v_add_f64 v[73:74], v[108:109], v[31:32]
	v_add_f64 v[81:82], v[22:23], -v[18:19]
	v_add_f64 v[87:88], v[12:13], -v[47:48]
	v_fma_f64 v[75:76], v[49:50], -0.5, v[134:135]
	v_fma_f64 v[49:50], v[2:3], v[85:86], v[61:62]
	v_add_f64 v[2:3], v[65:66], v[45:46]
	v_fma_f64 v[79:80], v[51:52], -0.5, v[112:113]
	v_fma_f64 v[51:52], v[106:107], v[85:86], -v[55:56]
	v_fma_f64 v[83:84], v[53:54], -0.5, v[114:115]
	v_fma_f64 v[53:54], v[132:133], v[89:90], -v[63:64]
	v_fma_f64 v[93:94], v[29:30], -0.5, v[108:109]
	v_fma_f64 v[55:56], v[24:25], v[89:90], v[91:92]
	v_mov_b32_e32 v29, 3
	v_add_f64 v[69:70], v[69:70], v[39:40]
	v_add_f64 v[71:72], v[71:72], v[41:42]
	;; [unrolled: 1-line block ×3, first 2 shown]
	v_mad_u32_u24 v30, 0x138, v95, 0
	v_mad_u32_u24 v95, 0x138, v96, 0
	v_and_b32_e32 v96, 0xffff, v99
	v_lshlrev_b32_sdwa v98, v29, v101 dst_sel:DWORD dst_unused:UNUSED_PAD src0_sel:DWORD src1_sel:BYTE_0
	v_lshlrev_b32_sdwa v24, v29, v102 dst_sel:DWORD dst_unused:UNUSED_PAD src0_sel:DWORD src1_sel:BYTE_0
	v_mad_u32_u24 v64, 0x138, v97, 0
	v_and_b32_e32 v61, 0xffff, v141
	v_mad_u32_u24 v25, 0x138, v96, 0
	v_add3_u32 v63, v30, v98, v129
	v_fma_f64 v[85:86], v[67:68], s[4:5], v[75:76]
	v_fma_f64 v[66:67], v[67:68], s[6:7], v[75:76]
	v_add3_u32 v62, v95, v24, v129
	v_fma_f64 v[75:76], v[77:78], s[4:5], v[79:80]
	v_fma_f64 v[77:78], v[77:78], s[6:7], v[79:80]
	v_fma_f64 v[79:80], v[81:82], s[4:5], v[83:84]
	v_fma_f64 v[81:82], v[81:82], s[6:7], v[83:84]
	v_fma_f64 v[83:84], v[87:88], s[4:5], v[93:94]
	v_fma_f64 v[87:88], v[87:88], s[6:7], v[93:94]
	v_lshlrev_b32_sdwa v24, v29, v103 dst_sel:DWORD dst_unused:UNUSED_PAD src0_sel:DWORD src1_sel:BYTE_0
	v_lshlrev_b32_sdwa v30, v29, v140 dst_sel:DWORD dst_unused:UNUSED_PAD src0_sel:DWORD src1_sel:BYTE_0
	v_add3_u32 v65, v25, v24, v129
	v_add3_u32 v64, v64, v30, v129
	ds_write2_b64 v63, v[2:3], v[85:86] offset1:13
	ds_write_b64 v63, v[66:67] offset:208
	ds_write2_b64 v62, v[69:70], v[75:76] offset1:13
	ds_write_b64 v62, v[77:78] offset:208
	;; [unrolled: 2-line block ×4, first 2 shown]
	s_and_saveexec_b32 s1, s0
	s_cbranch_execz .LBB0_22
; %bb.21:
	v_add_f64 v[2:3], v[51:52], v[53:54]
	v_add_f64 v[24:25], v[49:50], -v[55:56]
	v_add_f64 v[66:67], v[104:105], v[51:52]
	v_fma_f64 v[2:3], v[2:3], -0.5, v[104:105]
	v_add_f64 v[66:67], v[66:67], v[53:54]
	v_fma_f64 v[68:69], v[24:25], s[4:5], v[2:3]
	v_fma_f64 v[2:3], v[24:25], s[6:7], v[2:3]
	v_mad_u32_u24 v24, 0x138, v61, 0
	v_lshlrev_b32_sdwa v25, v29, v60 dst_sel:DWORD dst_unused:UNUSED_PAD src0_sel:DWORD src1_sel:BYTE_0
	v_add3_u32 v24, v24, v25, v129
	ds_write2_b64 v24, v[66:67], v[68:69] offset1:13
	ds_write_b64 v24, v[2:3] offset:208
.LBB0_22:
	s_or_b32 exec_lo, exec_lo, s1
	v_add_f64 v[2:3], v[6:7], v[14:15]
	v_add_f64 v[24:25], v[20:21], v[16:17]
	;; [unrolled: 1-line block ×5, first 2 shown]
	v_add_f64 v[43:44], v[43:44], -v[45:46]
	v_add_f64 v[45:46], v[4:5], v[12:13]
	v_add_f64 v[20:21], v[8:9], v[20:21]
	v_add_f64 v[22:23], v[10:11], v[22:23]
	v_add_f64 v[33:34], v[33:34], -v[39:40]
	v_add_f64 v[35:36], v[35:36], -v[41:42]
	;; [unrolled: 1-line block ×3, first 2 shown]
	v_add_nc_u32_e32 v31, 0x800, v138
	s_waitcnt lgkmcnt(0)
	s_barrier
	buffer_gl0_inv
	v_fma_f64 v[70:71], v[2:3], -0.5, v[27:28]
	v_fma_f64 v[24:25], v[24:25], -0.5, v[8:9]
	;; [unrolled: 1-line block ×4, first 2 shown]
	v_add_f64 v[66:67], v[68:69], v[14:15]
	ds_read2_b64 v[2:5], v138 offset0:39 offset1:78
	ds_read2_b64 v[6:9], v138 offset0:117 offset1:156
	;; [unrolled: 1-line block ×3, first 2 shown]
	v_add_f64 v[45:46], v[45:46], v[47:48]
	ds_read_b64 v[27:28], v139
	ds_read_b64 v[29:30], v138 offset:4056
	v_add_f64 v[68:69], v[20:21], v[16:17]
	v_add_f64 v[72:73], v[22:23], v[18:19]
	v_fma_f64 v[47:48], v[43:44], s[6:7], v[70:71]
	v_fma_f64 v[43:44], v[43:44], s[4:5], v[70:71]
	;; [unrolled: 1-line block ×4, first 2 shown]
	ds_read2_b64 v[18:21], v31 offset0:17 offset1:56
	ds_read2_b64 v[14:17], v31 offset0:95 offset1:134
	;; [unrolled: 1-line block ×3, first 2 shown]
	v_fma_f64 v[74:75], v[35:36], s[6:7], v[39:40]
	v_fma_f64 v[34:35], v[35:36], s[4:5], v[39:40]
	;; [unrolled: 1-line block ×4, first 2 shown]
	s_waitcnt lgkmcnt(0)
	s_barrier
	buffer_gl0_inv
	ds_write2_b64 v63, v[66:67], v[47:48] offset1:13
	ds_write_b64 v63, v[43:44] offset:208
	ds_write2_b64 v62, v[68:69], v[70:71] offset1:13
	ds_write_b64 v62, v[32:33] offset:208
	;; [unrolled: 2-line block ×4, first 2 shown]
	s_and_saveexec_b32 s1, s0
	s_cbranch_execz .LBB0_24
; %bb.23:
	v_add_f64 v[32:33], v[49:50], v[55:56]
	v_add_f64 v[34:35], v[51:52], -v[53:54]
	s_mov_b32 s5, 0xbfebb67a
	s_mov_b32 s4, 0xe8584caa
	v_fma_f64 v[32:33], v[32:33], -0.5, v[0:1]
	v_add_f64 v[0:1], v[0:1], v[49:50]
	v_fma_f64 v[36:37], v[34:35], s[4:5], v[32:33]
	s_mov_b32 s5, 0x3febb67a
	v_add_f64 v[0:1], v[0:1], v[55:56]
	v_fma_f64 v[32:33], v[34:35], s[4:5], v[32:33]
	v_mov_b32_e32 v34, 3
	v_mad_u32_u24 v35, 0x138, v61, 0
	v_lshlrev_b32_sdwa v34, v34, v60 dst_sel:DWORD dst_unused:UNUSED_PAD src0_sel:DWORD src1_sel:BYTE_0
	v_add3_u32 v34, v35, v34, v129
	ds_write2_b64 v34, v[0:1], v[36:37] offset1:13
	ds_write_b64 v34, v[32:33] offset:208
.LBB0_24:
	s_or_b32 exec_lo, exec_lo, s1
	v_mul_u32_u24_e32 v0, 6, v128
	s_waitcnt lgkmcnt(0)
	s_barrier
	buffer_gl0_inv
	s_mov_b32 s18, 0x37e14327
	v_lshlrev_b32_e32 v0, 4, v0
	s_mov_b32 s0, 0x36b3c0b5
	s_mov_b32 s22, 0xe976ee23
	;; [unrolled: 1-line block ×4, first 2 shown]
	s_clause 0x5
	global_load_dwordx4 v[32:35], v0, s[8:9] offset:416
	global_load_dwordx4 v[36:39], v0, s[8:9] offset:432
	global_load_dwordx4 v[40:43], v0, s[8:9] offset:448
	global_load_dwordx4 v[44:47], v0, s[8:9] offset:496
	global_load_dwordx4 v[48:51], v0, s[8:9] offset:480
	global_load_dwordx4 v[52:55], v0, s[8:9] offset:464
	ds_read2_b64 v[60:63], v138 offset0:39 offset1:78
	ds_read2_b64 v[64:67], v138 offset0:117 offset1:156
	;; [unrolled: 1-line block ×6, first 2 shown]
	ds_read_b64 v[0:1], v139
	ds_read_b64 v[84:85], v138 offset:4056
	s_mov_b32 s23, 0xbfe11646
	s_mov_b32 s6, 0x429ad128
	s_mov_b32 s7, 0x3febfeb5
	s_mov_b32 s10, 0xaaaaaaaa
	s_mov_b32 s14, 0x5476071b
	s_mov_b32 s20, 0xb247c609
	s_mov_b32 s11, 0xbff2aaaa
	s_mov_b32 s15, 0x3fe77f67
	s_mov_b32 s17, 0xbfe77f67
	s_mov_b32 s21, 0x3fd5d0dc
	s_mov_b32 s16, s14
	s_mov_b32 s25, 0xbfd5d0dc
	s_mov_b32 s24, s20
	s_mov_b32 s4, 0x37c3f68c
	s_mov_b32 s5, 0x3fdc38aa
	v_add_nc_u32_e32 v56, 0x400, v138
	s_waitcnt vmcnt(0) lgkmcnt(0)
	s_barrier
	buffer_gl0_inv
	v_mul_f64 v[86:87], v[62:63], v[34:35]
	v_mul_f64 v[90:91], v[66:67], v[38:39]
	;; [unrolled: 1-line block ×22, first 2 shown]
	v_fma_f64 v[4:5], v[4:5], v[32:33], -v[86:87]
	v_fma_f64 v[8:9], v[8:9], v[36:37], -v[90:91]
	v_mul_f64 v[120:121], v[76:77], v[54:55]
	v_fma_f64 v[24:25], v[24:25], v[44:45], -v[98:99]
	v_fma_f64 v[16:17], v[16:17], v[48:49], -v[102:103]
	v_mul_f64 v[54:55], v[14:15], v[54:55]
	v_fma_f64 v[12:13], v[12:13], v[40:41], -v[94:95]
	v_fma_f64 v[20:21], v[20:21], v[52:53], -v[106:107]
	;; [unrolled: 1-line block ×6, first 2 shown]
	v_fma_f64 v[62:63], v[62:63], v[32:33], v[88:89]
	v_fma_f64 v[66:67], v[66:67], v[36:37], v[92:93]
	;; [unrolled: 1-line block ×10, first 2 shown]
	v_fma_f64 v[18:19], v[18:19], v[40:41], -v[118:119]
	v_fma_f64 v[40:41], v[72:73], v[40:41], v[42:43]
	v_fma_f64 v[14:15], v[14:15], v[52:53], -v[120:121]
	v_add_f64 v[44:45], v[4:5], v[24:25]
	v_add_f64 v[48:49], v[8:9], v[16:17]
	v_fma_f64 v[42:43], v[76:77], v[52:53], v[54:55]
	v_add_f64 v[8:9], v[8:9], -v[16:17]
	v_add_f64 v[16:17], v[12:13], v[20:21]
	v_add_f64 v[12:13], v[20:21], -v[12:13]
	v_add_f64 v[4:5], v[4:5], -v[24:25]
	v_add_f64 v[20:21], v[6:7], v[29:30]
	v_add_f64 v[54:55], v[10:11], v[22:23]
	v_add_f64 v[6:7], v[6:7], -v[29:30]
	v_add_f64 v[10:11], v[10:11], -v[22:23]
	v_add_f64 v[46:47], v[62:63], v[82:83]
	v_add_f64 v[50:51], v[66:67], v[78:79]
	v_add_f64 v[52:53], v[66:67], -v[78:79]
	v_add_f64 v[24:25], v[70:71], v[74:75]
	v_add_f64 v[64:65], v[74:75], -v[70:71]
	;; [unrolled: 2-line block ×4, first 2 shown]
	v_add_f64 v[62:63], v[62:63], -v[82:83]
	v_add_f64 v[34:35], v[18:19], v[14:15]
	v_add_f64 v[14:15], v[14:15], -v[18:19]
	v_add_f64 v[38:39], v[48:49], v[44:45]
	;; [unrolled: 2-line block ×3, first 2 shown]
	v_add_f64 v[42:43], v[48:49], -v[44:45]
	v_add_f64 v[44:45], v[44:45], -v[16:17]
	;; [unrolled: 1-line block ×3, first 2 shown]
	v_add_f64 v[70:71], v[12:13], v[8:9]
	v_add_f64 v[72:73], v[54:55], v[20:21]
	v_add_f64 v[82:83], v[54:55], -v[20:21]
	v_add_f64 v[76:77], v[12:13], -v[8:9]
	;; [unrolled: 1-line block ×3, first 2 shown]
	v_add_f64 v[40:41], v[50:51], v[46:47]
	v_add_f64 v[68:69], v[50:51], -v[46:47]
	v_add_f64 v[46:47], v[46:47], -v[24:25]
	v_add_f64 v[74:75], v[64:65], v[52:53]
	v_add_f64 v[78:79], v[64:65], -v[52:53]
	v_add_f64 v[50:51], v[24:25], -v[50:51]
	;; [unrolled: 3-line block ×3, first 2 shown]
	v_add_f64 v[20:21], v[20:21], -v[34:35]
	v_add_f64 v[54:55], v[34:35], -v[54:55]
	v_add_f64 v[16:17], v[16:17], v[38:39]
	v_add_f64 v[38:39], v[18:19], v[22:23]
	v_add_f64 v[90:91], v[18:19], -v[22:23]
	v_add_f64 v[22:23], v[22:23], -v[29:30]
	v_add_f64 v[86:87], v[14:15], v[10:11]
	v_add_f64 v[64:65], v[62:63], -v[64:65]
	v_add_f64 v[66:67], v[66:67], -v[36:37]
	;; [unrolled: 3-line block ×3, first 2 shown]
	v_add_f64 v[10:11], v[10:11], -v[6:7]
	v_add_f64 v[24:25], v[24:25], v[40:41]
	v_mul_f64 v[44:45], v[44:45], s[18:19]
	v_mul_f64 v[46:47], v[46:47], s[18:19]
	v_add_f64 v[40:41], v[74:75], v[62:63]
	v_mul_f64 v[62:63], v[48:49], s[0:1]
	v_mul_f64 v[74:75], v[78:79], s[22:23]
	v_add_f64 v[36:37], v[36:37], v[80:81]
	v_add_f64 v[12:13], v[4:5], -v[12:13]
	v_mul_f64 v[78:79], v[52:53], s[6:7]
	v_add_f64 v[18:19], v[29:30], -v[18:19]
	v_add_f64 v[4:5], v[70:71], v[4:5]
	v_add_f64 v[27:28], v[27:28], v[16:17]
	v_mul_f64 v[70:71], v[50:51], s[0:1]
	v_add_f64 v[29:30], v[38:39], v[29:30]
	v_mul_f64 v[20:21], v[20:21], s[18:19]
	v_mul_f64 v[38:39], v[90:91], s[22:23]
	;; [unrolled: 1-line block ×3, first 2 shown]
	v_add_f64 v[14:15], v[6:7], -v[14:15]
	v_add_f64 v[2:3], v[2:3], v[34:35]
	v_add_f64 v[6:7], v[86:87], v[6:7]
	v_mul_f64 v[86:87], v[54:55], s[0:1]
	v_mul_f64 v[72:73], v[76:77], s[22:23]
	;; [unrolled: 1-line block ×7, first 2 shown]
	v_add_f64 v[94:95], v[0:1], v[24:25]
	v_fma_f64 v[0:1], v[48:49], s[0:1], v[44:45]
	v_fma_f64 v[48:49], v[50:51], s[0:1], v[46:47]
	v_fma_f64 v[50:51], v[42:43], s[14:15], -v[62:63]
	v_fma_f64 v[42:43], v[42:43], s[16:17], -v[44:45]
	;; [unrolled: 1-line block ×3, first 2 shown]
	v_fma_f64 v[46:47], v[64:65], s[20:21], v[74:75]
	v_add_f64 v[60:61], v[60:61], v[36:37]
	v_fma_f64 v[16:17], v[16:17], s[10:11], v[27:28]
	v_fma_f64 v[52:53], v[52:53], s[6:7], -v[74:75]
	v_fma_f64 v[64:65], v[64:65], s[24:25], -v[78:79]
	;; [unrolled: 1-line block ×3, first 2 shown]
	v_fma_f64 v[54:55], v[54:55], s[0:1], v[20:21]
	v_fma_f64 v[70:71], v[18:19], s[20:21], v[38:39]
	v_fma_f64 v[22:23], v[22:23], s[6:7], -v[38:39]
	v_fma_f64 v[18:19], v[18:19], s[24:25], -v[80:81]
	v_fma_f64 v[34:35], v[34:35], s[10:11], v[2:3]
	v_fma_f64 v[20:21], v[82:83], s[16:17], -v[20:21]
	v_fma_f64 v[38:39], v[82:83], s[14:15], -v[86:87]
	v_fma_f64 v[68:69], v[12:13], s[20:21], v[72:73]
	v_fma_f64 v[8:9], v[8:9], s[6:7], -v[72:73]
	v_fma_f64 v[12:13], v[12:13], s[24:25], -v[76:77]
	v_fma_f64 v[32:33], v[32:33], s[0:1], v[66:67]
	v_fma_f64 v[72:73], v[84:85], s[14:15], -v[90:91]
	v_fma_f64 v[74:75], v[14:15], s[20:21], v[88:89]
	v_fma_f64 v[10:11], v[10:11], s[6:7], -v[88:89]
	;; [unrolled: 2-line block ×3, first 2 shown]
	v_fma_f64 v[14:15], v[14:15], s[24:25], -v[92:93]
	v_fma_f64 v[46:47], v[40:41], s[4:5], v[46:47]
	v_fma_f64 v[36:37], v[36:37], s[10:11], v[60:61]
	v_add_f64 v[0:1], v[0:1], v[16:17]
	v_fma_f64 v[52:53], v[40:41], s[4:5], v[52:53]
	v_fma_f64 v[40:41], v[40:41], s[4:5], v[64:65]
	v_add_f64 v[42:43], v[42:43], v[16:17]
	v_add_f64 v[16:17], v[50:51], v[16:17]
	v_fma_f64 v[50:51], v[29:30], s[4:5], v[70:71]
	v_fma_f64 v[22:23], v[29:30], s[4:5], v[22:23]
	;; [unrolled: 1-line block ×3, first 2 shown]
	v_add_f64 v[29:30], v[54:55], v[34:35]
	v_add_f64 v[20:21], v[20:21], v[34:35]
	;; [unrolled: 1-line block ×3, first 2 shown]
	v_fma_f64 v[38:39], v[4:5], s[4:5], v[68:69]
	v_fma_f64 v[8:9], v[4:5], s[4:5], v[8:9]
	;; [unrolled: 1-line block ×5, first 2 shown]
	v_add_f64 v[48:49], v[48:49], v[24:25]
	v_add_f64 v[44:45], v[44:45], v[24:25]
	;; [unrolled: 1-line block ×3, first 2 shown]
	v_fma_f64 v[6:7], v[6:7], s[4:5], v[14:15]
	v_add_f64 v[14:15], v[32:33], v[36:37]
	v_add_f64 v[32:33], v[72:73], v[36:37]
	;; [unrolled: 1-line block ×5, first 2 shown]
	v_add_f64 v[64:65], v[16:17], -v[52:53]
	v_add_f64 v[16:17], v[52:53], v[16:17]
	v_add_f64 v[40:41], v[42:43], -v[40:41]
	v_add_f64 v[0:1], v[0:1], -v[46:47]
	v_add_f64 v[42:43], v[50:51], v[29:30]
	v_add_f64 v[46:47], v[18:19], v[20:21]
	v_add_f64 v[52:53], v[34:35], -v[22:23]
	v_add_f64 v[22:23], v[22:23], v[34:35]
	v_add_f64 v[18:19], v[20:21], -v[18:19]
	v_add_f64 v[20:21], v[29:30], -v[50:51]
	ds_write2_b64 v138, v[27:28], v[54:55] offset1:39
	ds_write2_b64 v138, v[62:63], v[64:65] offset0:78 offset1:117
	ds_write2_b64 v138, v[16:17], v[40:41] offset0:156 offset1:195
	;; [unrolled: 1-line block ×6, first 2 shown]
	v_add_f64 v[34:35], v[48:49], -v[38:39]
	v_add_f64 v[50:51], v[44:45], -v[4:5]
	v_add_f64 v[66:67], v[8:9], v[24:25]
	v_add_f64 v[68:69], v[24:25], -v[8:9]
	v_add_f64 v[44:45], v[4:5], v[44:45]
	v_add_f64 v[38:39], v[38:39], v[48:49]
	v_add_f64 v[48:49], v[14:15], -v[12:13]
	v_add_f64 v[70:71], v[36:37], -v[6:7]
	v_add_f64 v[72:73], v[10:11], v[32:33]
	v_add_f64 v[32:33], v[32:33], -v[10:11]
	v_add_f64 v[36:37], v[6:7], v[36:37]
	v_add_f64 v[74:75], v[12:13], v[14:15]
	s_waitcnt lgkmcnt(0)
	s_barrier
	buffer_gl0_inv
	ds_read2_b64 v[16:19], v31 offset0:17 offset1:56
	ds_read2_b64 v[8:11], v138 offset0:39 offset1:78
	;; [unrolled: 1-line block ×6, first 2 shown]
	ds_read_b64 v[24:25], v139
	ds_read_b64 v[28:29], v138 offset:4056
	s_waitcnt lgkmcnt(0)
	s_barrier
	buffer_gl0_inv
	ds_write2_b64 v138, v[94:95], v[34:35] offset1:39
	ds_write2_b64 v138, v[50:51], v[66:67] offset0:78 offset1:117
	ds_write2_b64 v138, v[68:69], v[44:45] offset0:156 offset1:195
	ds_write2_b64 v56, v[38:39], v[60:61] offset0:106 offset1:145
	ds_write2_b64 v31, v[48:49], v[70:71] offset0:56 offset1:95
	ds_write2_b64 v31, v[72:73], v[32:33] offset0:134 offset1:173
	ds_write2_b64 v31, v[36:37], v[74:75] offset0:212 offset1:251
	s_waitcnt lgkmcnt(0)
	s_barrier
	buffer_gl0_inv
	s_and_saveexec_b32 s0, vcc_lo
	s_cbranch_execz .LBB0_26
; %bb.25:
	v_mov_b32_e32 v55, 0
	v_add_nc_u32_e32 v54, 0xea, v128
	v_add_nc_u32_e32 v88, 0xc3, v128
	v_mad_u64_u32 v[91:92], null, s2, v128, 0
	v_mov_b32_e32 v89, v55
	v_lshlrev_b64 v[30:31], 4, v[54:55]
	v_mov_b32_e32 v27, v55
	v_mov_b32_e32 v129, v55
	v_mad_u64_u32 v[93:94], null, s2, v57, 0
	v_lshlrev_b64 v[32:33], 4, v[88:89]
	v_add_co_u32 v30, vcc_lo, s8, v30
	v_add_co_ci_u32_e32 v31, vcc_lo, s9, v31, vcc_lo
	v_lshlrev_b64 v[34:35], 4, v[26:27]
	v_add_co_u32 v30, vcc_lo, 0x1000, v30
	v_add_co_ci_u32_e32 v31, vcc_lo, 0, v31, vcc_lo
	v_add_co_u32 v27, vcc_lo, s8, v32
	v_add_co_ci_u32_e32 v37, vcc_lo, s9, v33, vcc_lo
	v_lshlrev_b64 v[38:39], 4, v[128:129]
	v_add_co_u32 v36, vcc_lo, 0x1000, v27
	v_add_co_ci_u32_e32 v37, vcc_lo, 0, v37, vcc_lo
	v_add_co_u32 v27, vcc_lo, s8, v34
	v_add_co_ci_u32_e32 v34, vcc_lo, s9, v35, vcc_lo
	;; [unrolled: 2-line block ×5, first 2 shown]
	s_clause 0x6
	global_load_dwordx4 v[30:33], v[30:31], off offset:64
	global_load_dwordx4 v[34:37], v[36:37], off offset:64
	;; [unrolled: 1-line block ×7, first 2 shown]
	v_mad_u64_u32 v[95:96], null, s2, v58, 0
	v_add_nc_u32_e32 v27, 0x800, v138
	v_mad_u64_u32 v[97:98], null, s2, v59, 0
	v_add_nc_u32_e32 v117, 0x111, v128
	;; [unrolled: 2-line block ×3, first 2 shown]
	v_add_nc_u32_e32 v118, 0x138, v128
	v_add_nc_u32_e32 v119, 0x15f, v128
	;; [unrolled: 1-line block ×3, first 2 shown]
	ds_read2_b64 v[64:67], v138 offset0:195 offset1:234
	ds_read2_b64 v[68:71], v138 offset0:117 offset1:156
	;; [unrolled: 1-line block ×3, first 2 shown]
	ds_read_b64 v[55:56], v138 offset:4056
	ds_read_b64 v[89:90], v139
	ds_read2_b64 v[76:79], v27 offset0:173 offset1:212
	ds_read2_b64 v[80:83], v27 offset0:95 offset1:134
	ds_read2_b64 v[84:87], v27 offset0:17 offset1:56
	v_mov_b32_e32 v27, v92
	v_mad_u64_u32 v[101:102], null, s2, v117, 0
	v_mad_u64_u32 v[109:110], null, s2, v121, 0
	v_mov_b32_e32 v92, v94
	v_mul_hi_u32 v122, 0xe01e01e1, v88
	v_mov_b32_e32 v94, v96
	v_mad_u64_u32 v[103:104], null, s2, v118, 0
	v_mad_u64_u32 v[105:106], null, s2, v119, 0
	;; [unrolled: 1-line block ×3, first 2 shown]
	v_mov_b32_e32 v96, v98
	v_mov_b32_e32 v98, v100
	v_mul_hi_u32 v123, 0xe01e01e1, v54
	v_mad_u64_u32 v[111:112], null, s3, v128, v[27:28]
	v_mad_u64_u32 v[112:113], null, s3, v57, v[92:93]
	;; [unrolled: 1-line block ×4, first 2 shown]
	v_mov_b32_e32 v27, v102
	v_mad_u64_u32 v[115:116], null, s3, v26, v[98:99]
	v_mov_b32_e32 v26, v110
	v_sub_nc_u32_e32 v92, v88, v122
	v_mov_b32_e32 v57, v104
	v_mov_b32_e32 v58, v106
	;; [unrolled: 1-line block ×3, first 2 shown]
	v_sub_nc_u32_e32 v94, v54, v123
	v_mad_u64_u32 v[116:117], null, s3, v117, v[27:28]
	v_mad_u64_u32 v[26:27], null, s3, v121, v[26:27]
	v_lshrrev_b32_e32 v27, 1, v92
	v_mov_b32_e32 v92, v111
	v_mad_u64_u32 v[117:118], null, s3, v118, v[57:58]
	v_mad_u64_u32 v[57:58], null, s3, v119, v[58:59]
	v_lshlrev_b64 v[91:92], 4, v[91:92]
	v_add_co_u32 v133, vcc_lo, s12, v130
	v_mov_b32_e32 v96, v113
	v_add_co_ci_u32_e32 v134, vcc_lo, s13, v131, vcc_lo
	v_add_nc_u32_e32 v27, v27, v122
	v_mov_b32_e32 v98, v114
	v_lshlrev_b64 v[95:96], 4, v[95:96]
	v_add_co_u32 v91, vcc_lo, v133, v91
	v_mov_b32_e32 v100, v115
	v_lshrrev_b32_e32 v111, 8, v27
	v_add_co_ci_u32_e32 v92, vcc_lo, v134, v92, vcc_lo
	v_lshlrev_b64 v[97:98], 4, v[97:98]
	v_mov_b32_e32 v102, v116
	v_mov_b32_e32 v106, v57
	;; [unrolled: 1-line block ×3, first 2 shown]
	v_mad_u32_u24 v88, 0x111, v111, v88
	v_mov_b32_e32 v110, v26
	v_lshlrev_b64 v[26:27], 4, v[101:102]
	v_lshlrev_b64 v[101:102], 4, v[105:106]
	v_add_nc_u32_e32 v131, 0x111, v88
	v_lshlrev_b64 v[105:106], 4, v[109:110]
	s_waitcnt vmcnt(5)
	v_mul_f64 v[117:118], v[22:23], v[36:37]
	s_waitcnt lgkmcnt(2)
	v_mul_f64 v[36:37], v[78:79], v[36:37]
	s_waitcnt vmcnt(3)
	v_mul_f64 v[121:122], v[16:17], v[44:45]
	s_waitcnt lgkmcnt(0)
	v_mul_f64 v[44:45], v[84:85], v[44:45]
	v_mul_f64 v[115:116], v[28:29], v[32:33]
	s_waitcnt vmcnt(0)
	v_mad_u64_u32 v[58:59], null, s3, v120, v[59:60]
	v_lshrrev_b32_e32 v59, 1, v94
	v_mov_b32_e32 v94, v112
	v_mul_f64 v[32:33], v[55:56], v[32:33]
	v_mul_f64 v[119:120], v[20:21], v[40:41]
	;; [unrolled: 1-line block ×3, first 2 shown]
	v_add_nc_u32_e32 v59, v59, v123
	v_lshlrev_b64 v[93:94], 4, v[93:94]
	v_mov_b32_e32 v108, v58
	v_lshlrev_b64 v[57:58], 4, v[99:100]
	v_mul_f64 v[123:124], v[18:19], v[48:49]
	v_lshrrev_b32_e32 v59, 8, v59
	v_mul_f64 v[48:49], v[86:87], v[48:49]
	v_add_co_u32 v93, vcc_lo, v133, v93
	v_add_co_ci_u32_e32 v94, vcc_lo, v134, v94, vcc_lo
	v_add_co_u32 v95, vcc_lo, v133, v95
	v_add_co_ci_u32_e32 v96, vcc_lo, v134, v96, vcc_lo
	;; [unrolled: 2-line block ×3, first 2 shown]
	v_mad_u32_u24 v129, 0x111, v59, v54
	v_lshlrev_b64 v[99:100], 4, v[103:104]
	v_lshlrev_b64 v[103:104], 4, v[107:108]
	v_add_co_u32 v107, vcc_lo, v133, v57
	v_mul_f64 v[125:126], v[12:13], v[52:53]
	v_mul_f64 v[52:53], v[80:81], v[52:53]
	v_add_co_ci_u32_e32 v108, vcc_lo, v134, v58, vcc_lo
	v_mul_f64 v[127:128], v[14:15], v[62:63]
	v_mul_f64 v[62:63], v[82:83], v[62:63]
	v_add_co_u32 v109, vcc_lo, v133, v26
	v_mad_u64_u32 v[57:58], null, s2, v129, 0
	v_add_co_ci_u32_e32 v110, vcc_lo, v134, v27, vcc_lo
	v_mad_u64_u32 v[26:27], null, s2, v88, 0
	v_mad_u64_u32 v[111:112], null, s2, v131, 0
	v_mov_b32_e32 v54, v58
	v_add_nc_u32_e32 v132, 0x111, v129
	v_fma_f64 v[22:23], v[22:23], v[34:35], -v[36:37]
	v_fma_f64 v[36:37], v[16:17], v[42:43], -v[44:45]
	v_mad_u64_u32 v[58:59], null, s3, v88, v[27:28]
	v_mov_b32_e32 v27, v112
	v_mad_u64_u32 v[129:130], null, s3, v129, v[54:55]
	v_fma_f64 v[54:55], v[55:56], v[30:31], v[115:116]
	v_fma_f64 v[20:21], v[20:21], v[38:39], -v[40:41]
	v_mad_u64_u32 v[130:131], null, s3, v131, v[27:28]
	v_fma_f64 v[28:29], v[28:29], v[30:31], -v[32:33]
	v_fma_f64 v[30:31], v[78:79], v[34:35], v[117:118]
	v_fma_f64 v[34:35], v[84:85], v[42:43], v[121:122]
	;; [unrolled: 1-line block ×4, first 2 shown]
	v_fma_f64 v[40:41], v[18:19], v[46:47], -v[48:49]
	v_fma_f64 v[42:43], v[80:81], v[50:51], v[125:126]
	v_fma_f64 v[44:45], v[12:13], v[50:51], -v[52:53]
	v_fma_f64 v[46:47], v[82:83], v[60:61], v[127:128]
	v_fma_f64 v[48:49], v[14:15], v[60:61], -v[62:63]
	v_mov_b32_e32 v27, v58
	v_add_f64 v[16:17], v[4:5], -v[22:23]
	v_add_co_u32 v99, vcc_lo, v133, v99
	v_mad_u64_u32 v[113:114], null, s2, v132, 0
	v_lshlrev_b64 v[50:51], 4, v[26:27]
	v_add_f64 v[26:27], v[24:25], -v[36:37]
	v_add_co_ci_u32_e32 v100, vcc_lo, v134, v100, vcc_lo
	v_add_f64 v[20:21], v[2:3], -v[20:21]
	v_add_f64 v[14:15], v[66:67], -v[54:55]
	;; [unrolled: 1-line block ×12, first 2 shown]
	v_add_co_u32 v101, vcc_lo, v133, v101
	v_add_co_ci_u32_e32 v102, vcc_lo, v134, v102, vcc_lo
	v_add_co_u32 v62, vcc_lo, v133, v103
	v_mov_b32_e32 v59, v114
	v_add_co_ci_u32_e32 v63, vcc_lo, v134, v104, vcc_lo
	v_add_co_u32 v76, vcc_lo, v133, v105
	v_mov_b32_e32 v58, v129
	v_add_co_ci_u32_e32 v77, vcc_lo, v134, v106, vcc_lo
	v_add_co_u32 v84, vcc_lo, v133, v50
	v_fma_f64 v[48:49], v[89:90], 2.0, -v[28:29]
	v_fma_f64 v[46:47], v[24:25], 2.0, -v[26:27]
	v_mad_u64_u32 v[131:132], null, s3, v132, v[59:60]
	v_add_co_ci_u32_e32 v85, vcc_lo, v134, v51, vcc_lo
	v_fma_f64 v[52:53], v[72:73], 2.0, -v[32:33]
	v_fma_f64 v[50:51], v[8:9], 2.0, -v[30:31]
	v_lshlrev_b64 v[78:79], 4, v[57:58]
	v_fma_f64 v[56:57], v[74:75], 2.0, -v[36:37]
	v_fma_f64 v[54:55], v[10:11], 2.0, -v[34:35]
	v_mov_b32_e32 v112, v130
	v_fma_f64 v[10:11], v[68:69], 2.0, -v[40:41]
	v_fma_f64 v[8:9], v[0:1], 2.0, -v[38:39]
	;; [unrolled: 1-line block ×4, first 2 shown]
	v_mov_b32_e32 v114, v131
	v_fma_f64 v[42:43], v[6:7], 2.0, -v[12:13]
	v_fma_f64 v[6:7], v[64:65], 2.0, -v[18:19]
	;; [unrolled: 1-line block ×3, first 2 shown]
	v_lshlrev_b64 v[80:81], 4, v[111:112]
	v_fma_f64 v[44:45], v[66:67], 2.0, -v[14:15]
	v_lshlrev_b64 v[82:83], 4, v[113:114]
	v_add_co_u32 v0, vcc_lo, v133, v78
	v_add_co_ci_u32_e32 v1, vcc_lo, v134, v79, vcc_lo
	v_add_co_u32 v2, vcc_lo, v133, v80
	v_add_co_ci_u32_e32 v3, vcc_lo, v134, v81, vcc_lo
	;; [unrolled: 2-line block ×3, first 2 shown]
	global_store_dwordx4 v[91:92], v[46:49], off
	global_store_dwordx4 v[109:110], v[26:29], off
	;; [unrolled: 1-line block ×14, first 2 shown]
.LBB0_26:
	s_endpgm
	.section	.rodata,"a",@progbits
	.p2align	6, 0x0
	.amdhsa_kernel fft_rtc_fwd_len546_factors_13_3_7_2_wgs_117_tpt_39_halfLds_dp_ip_CI_sbrr_dirReg
		.amdhsa_group_segment_fixed_size 0
		.amdhsa_private_segment_fixed_size 0
		.amdhsa_kernarg_size 88
		.amdhsa_user_sgpr_count 6
		.amdhsa_user_sgpr_private_segment_buffer 1
		.amdhsa_user_sgpr_dispatch_ptr 0
		.amdhsa_user_sgpr_queue_ptr 0
		.amdhsa_user_sgpr_kernarg_segment_ptr 1
		.amdhsa_user_sgpr_dispatch_id 0
		.amdhsa_user_sgpr_flat_scratch_init 0
		.amdhsa_user_sgpr_private_segment_size 0
		.amdhsa_wavefront_size32 1
		.amdhsa_uses_dynamic_stack 0
		.amdhsa_system_sgpr_private_segment_wavefront_offset 0
		.amdhsa_system_sgpr_workgroup_id_x 1
		.amdhsa_system_sgpr_workgroup_id_y 0
		.amdhsa_system_sgpr_workgroup_id_z 0
		.amdhsa_system_sgpr_workgroup_info 0
		.amdhsa_system_vgpr_workitem_id 0
		.amdhsa_next_free_vgpr 234
		.amdhsa_next_free_sgpr 46
		.amdhsa_reserve_vcc 1
		.amdhsa_reserve_flat_scratch 0
		.amdhsa_float_round_mode_32 0
		.amdhsa_float_round_mode_16_64 0
		.amdhsa_float_denorm_mode_32 3
		.amdhsa_float_denorm_mode_16_64 3
		.amdhsa_dx10_clamp 1
		.amdhsa_ieee_mode 1
		.amdhsa_fp16_overflow 0
		.amdhsa_workgroup_processor_mode 1
		.amdhsa_memory_ordered 1
		.amdhsa_forward_progress 0
		.amdhsa_shared_vgpr_count 0
		.amdhsa_exception_fp_ieee_invalid_op 0
		.amdhsa_exception_fp_denorm_src 0
		.amdhsa_exception_fp_ieee_div_zero 0
		.amdhsa_exception_fp_ieee_overflow 0
		.amdhsa_exception_fp_ieee_underflow 0
		.amdhsa_exception_fp_ieee_inexact 0
		.amdhsa_exception_int_div_zero 0
	.end_amdhsa_kernel
	.text
.Lfunc_end0:
	.size	fft_rtc_fwd_len546_factors_13_3_7_2_wgs_117_tpt_39_halfLds_dp_ip_CI_sbrr_dirReg, .Lfunc_end0-fft_rtc_fwd_len546_factors_13_3_7_2_wgs_117_tpt_39_halfLds_dp_ip_CI_sbrr_dirReg
                                        ; -- End function
	.section	.AMDGPU.csdata,"",@progbits
; Kernel info:
; codeLenInByte = 16340
; NumSgprs: 48
; NumVgprs: 234
; ScratchSize: 0
; MemoryBound: 1
; FloatMode: 240
; IeeeMode: 1
; LDSByteSize: 0 bytes/workgroup (compile time only)
; SGPRBlocks: 5
; VGPRBlocks: 29
; NumSGPRsForWavesPerEU: 48
; NumVGPRsForWavesPerEU: 234
; Occupancy: 4
; WaveLimiterHint : 1
; COMPUTE_PGM_RSRC2:SCRATCH_EN: 0
; COMPUTE_PGM_RSRC2:USER_SGPR: 6
; COMPUTE_PGM_RSRC2:TRAP_HANDLER: 0
; COMPUTE_PGM_RSRC2:TGID_X_EN: 1
; COMPUTE_PGM_RSRC2:TGID_Y_EN: 0
; COMPUTE_PGM_RSRC2:TGID_Z_EN: 0
; COMPUTE_PGM_RSRC2:TIDIG_COMP_CNT: 0
	.text
	.p2alignl 6, 3214868480
	.fill 48, 4, 3214868480
	.type	__hip_cuid_64ba8299eb9dbeb4,@object ; @__hip_cuid_64ba8299eb9dbeb4
	.section	.bss,"aw",@nobits
	.globl	__hip_cuid_64ba8299eb9dbeb4
__hip_cuid_64ba8299eb9dbeb4:
	.byte	0                               ; 0x0
	.size	__hip_cuid_64ba8299eb9dbeb4, 1

	.ident	"AMD clang version 19.0.0git (https://github.com/RadeonOpenCompute/llvm-project roc-6.4.0 25133 c7fe45cf4b819c5991fe208aaa96edf142730f1d)"
	.section	".note.GNU-stack","",@progbits
	.addrsig
	.addrsig_sym __hip_cuid_64ba8299eb9dbeb4
	.amdgpu_metadata
---
amdhsa.kernels:
  - .args:
      - .actual_access:  read_only
        .address_space:  global
        .offset:         0
        .size:           8
        .value_kind:     global_buffer
      - .offset:         8
        .size:           8
        .value_kind:     by_value
      - .actual_access:  read_only
        .address_space:  global
        .offset:         16
        .size:           8
        .value_kind:     global_buffer
      - .actual_access:  read_only
        .address_space:  global
        .offset:         24
        .size:           8
        .value_kind:     global_buffer
      - .offset:         32
        .size:           8
        .value_kind:     by_value
      - .actual_access:  read_only
        .address_space:  global
        .offset:         40
        .size:           8
        .value_kind:     global_buffer
      - .actual_access:  read_only
        .address_space:  global
        .offset:         48
        .size:           8
        .value_kind:     global_buffer
      - .offset:         56
        .size:           4
        .value_kind:     by_value
      - .actual_access:  read_only
        .address_space:  global
        .offset:         64
        .size:           8
        .value_kind:     global_buffer
      - .actual_access:  read_only
        .address_space:  global
        .offset:         72
        .size:           8
        .value_kind:     global_buffer
      - .address_space:  global
        .offset:         80
        .size:           8
        .value_kind:     global_buffer
    .group_segment_fixed_size: 0
    .kernarg_segment_align: 8
    .kernarg_segment_size: 88
    .language:       OpenCL C
    .language_version:
      - 2
      - 0
    .max_flat_workgroup_size: 117
    .name:           fft_rtc_fwd_len546_factors_13_3_7_2_wgs_117_tpt_39_halfLds_dp_ip_CI_sbrr_dirReg
    .private_segment_fixed_size: 0
    .sgpr_count:     48
    .sgpr_spill_count: 0
    .symbol:         fft_rtc_fwd_len546_factors_13_3_7_2_wgs_117_tpt_39_halfLds_dp_ip_CI_sbrr_dirReg.kd
    .uniform_work_group_size: 1
    .uses_dynamic_stack: false
    .vgpr_count:     234
    .vgpr_spill_count: 0
    .wavefront_size: 32
    .workgroup_processor_mode: 1
amdhsa.target:   amdgcn-amd-amdhsa--gfx1030
amdhsa.version:
  - 1
  - 2
...

	.end_amdgpu_metadata
